;; amdgpu-corpus repo=ROCm/aiter kind=harvested arch=n/a opt=n/a

/root/src/amdgpu-assembly/repos/ROCm__aiter/hsa/gfx942/fmha_v3_bwd/bwd_hd128_bf16_a16_rtna.co:	file format elf64-amdgpu

Disassembly of section .text:

0000000000003e00 <_ZN5aiter28fmha_bwd_hd128_bf16_a16_rtnaE>:
	s_and_b32 s1, s1, 0xffff                                   // 000000003E00: 8601FF01 0000FFFF
	s_load_dwordx2 s[32:33], s[0:1], 0x0                       // 000000003E08: C0060800 00000000
	s_load_dwordx2 s[36:37], s[0:1], 0x10                      // 000000003E10: C0060900 00000010
	s_load_dwordx2 s[40:41], s[0:1], 0x20                      // 000000003E18: C0060A00 00000020
	s_load_dwordx2 s[8:9], s[0:1], 0x30                        // 000000003E20: C0060200 00000030
	s_load_dwordx2 s[12:13], s[0:1], 0x40                      // 000000003E28: C0060300 00000040
	s_load_dwordx2 s[16:17], s[0:1], 0x50                      // 000000003E30: C0060400 00000050
	s_load_dwordx2 s[20:21], s[0:1], 0x60                      // 000000003E38: C0060500 00000060
	s_load_dwordx2 s[24:25], s[0:1], 0x70                      // 000000003E40: C0060600 00000070
	s_load_dwordx2 s[28:29], s[0:1], 0x80                      // 000000003E48: C0060700 00000080
	s_load_dword s48, s[0:1], 0x90                             // 000000003E50: C0020C00 00000090
	s_load_dword s49, s[0:1], 0xa0                             // 000000003E58: C0020C40 000000A0
	s_load_dword s50, s[0:1], 0xb0                             // 000000003E60: C0020C80 000000B0
	s_load_dword s51, s[0:1], 0xc0                             // 000000003E68: C0020CC0 000000C0
	s_load_dword s52, s[0:1], 0xd0                             // 000000003E70: C0020D00 000000D0
	s_load_dword s53, s[0:1], 0xe0                             // 000000003E78: C0020D40 000000E0
	s_load_dword s70, s[0:1], 0xf0                             // 000000003E80: C0021180 000000F0
	s_load_dword s44, s[0:1], 0x100                            // 000000003E88: C0020B00 00000100
	s_load_dword s5, s[0:1], 0x110                             // 000000003E90: C0020140 00000110
	s_load_dword s6, s[0:1], 0x120                             // 000000003E98: C0020180 00000120
	s_load_dword s7, s[0:1], 0x130                             // 000000003EA0: C00201C0 00000130
	s_load_dword s46, s[0:1], 0x140                            // 000000003EA8: C0020B80 00000140
	s_load_dword s87, s[0:1], 0x180                            // 000000003EB0: C00215C0 00000180
	s_load_dword s86, s[0:1], 0x240                            // 000000003EB8: C0021580 00000240
	v_lshrrev_b32_e32 v1, 10, v0                               // 000000003EC0: 2002008A
	v_lshrrev_b32_e32 v2, 10, v1                               // 000000003EC4: 2004028A
	v_and_b32_e32 v2, 0x3ff, v2                                // 000000003EC8: 260404FF 000003FF
	v_and_b32_e32 v1, 0x3ff, v1                                // 000000003ED0: 260202FF 000003FF
	v_and_b32_e32 v0, 0x3ff, v0                                // 000000003ED8: 260000FF 000003FF
	v_lshrrev_b32_e32 v3, 6, v0                                // 000000003EE0: 20060086
	v_and_b32_e32 v0, 63, v0                                   // 000000003EE4: 260000BF
	s_mov_b32 s2, s2                                           // 000000003EE8: BE820002
	s_mov_b32 s3, s3                                           // 000000003EEC: BE830003
	s_mov_b32 s4, s4                                           // 000000003EF0: BE840004
	v_readfirstlane_b32 s47, v3                                // 000000003EF4: 7E5E0503
	s_waitcnt lgkmcnt(0)                                       // 000000003EF8: BF8CC07F
	s_mov_b32 s10, 0x80000000                                  // 000000003EFC: BE8A00FF 80000000
	s_mov_b32 s14, 0x80000000                                  // 000000003F04: BE8E00FF 80000000
	s_mov_b32 s18, 0x80000000                                  // 000000003F0C: BE9200FF 80000000
	s_mov_b32 s22, 0x80000000                                  // 000000003F14: BE9600FF 80000000
	s_mov_b32 s26, 0x80000000                                  // 000000003F1C: BE9A00FF 80000000
	s_mov_b32 s30, 0x80000000                                  // 000000003F24: BE9E00FF 80000000
	s_mov_b32 s38, 0x80000000                                  // 000000003F2C: BEA600FF 80000000
	s_mov_b32 s42, 0x80000000                                  // 000000003F34: BEAA00FF 80000000
	s_mov_b32 s11, 0x20000                                     // 000000003F3C: BE8B00FF 00020000
	s_mov_b32 s15, 0x20000                                     // 000000003F44: BE8F00FF 00020000
	s_mov_b32 s19, 0x20000                                     // 000000003F4C: BE9300FF 00020000
	s_mov_b32 s23, 0x20000                                     // 000000003F54: BE9700FF 00020000
	s_mov_b32 s27, 0x20000                                     // 000000003F5C: BE9B00FF 00020000
	s_mov_b32 s31, 0x20000                                     // 000000003F64: BE9F00FF 00020000
	s_mov_b32 s39, 0x20000                                     // 000000003F6C: BEA700FF 00020000
	s_mov_b32 s43, 0x20000                                     // 000000003F74: BEAB00FF 00020000
	s_and_b32 s9, s9, 0xffff                                   // 000000003F7C: 8609FF09 0000FFFF
	s_and_b32 s13, s13, 0xffff                                 // 000000003F84: 860DFF0D 0000FFFF
	s_and_b32 s17, s17, 0xffff                                 // 000000003F8C: 8611FF11 0000FFFF
	s_and_b32 s21, s21, 0xffff                                 // 000000003F94: 8615FF15 0000FFFF
	s_and_b32 s25, s25, 0xffff                                 // 000000003F9C: 8619FF19 0000FFFF
	s_and_b32 s29, s29, 0xffff                                 // 000000003FA4: 861DFF1D 0000FFFF
	s_and_b32 s37, s37, 0xffff                                 // 000000003FAC: 8625FF25 0000FFFF
	s_and_b32 s41, s41, 0xffff                                 // 000000003FB4: 8629FF29 0000FFFF
	s_or_b32 s9, s9, 0x40000                                   // 000000003FBC: 8709FF09 00040000
	s_or_b32 s13, s13, 0x40000                                 // 000000003FC4: 870DFF0D 00040000
	s_or_b32 s17, s17, 0x40000                                 // 000000003FCC: 8711FF11 00040000
	s_or_b32 s21, s21, 0x40000                                 // 000000003FD4: 8715FF15 00040000
	s_or_b32 s25, s25, 0x40000                                 // 000000003FDC: 8719FF19 00040000
	s_or_b32 s29, s29, 0x40000                                 // 000000003FE4: 871DFF1D 00040000
	s_or_b32 s37, s37, 0x40000                                 // 000000003FEC: 8725FF25 00040000
	s_or_b32 s41, s41, 0x40000                                 // 000000003FF4: 8729FF29 00040000
	v_accvgpr_write_b32 a255, 0                                // 000000003FFC: D3D940FF 18000080
	v_mov_b32_e32 v251, 0                                      // 000000004004: 7FF60280
	s_mov_b32 s78, s8                                          // 000000004008: BECE0008
	s_mov_b32 s80, s12                                         // 00000000400C: BED0000C
	s_mov_b32 s82, s16                                         // 000000004010: BED20010
	s_mov_b32 s84, s20                                         // 000000004014: BED40014
	s_mov_b32 s79, s9                                          // 000000004018: BECF0009
	s_mov_b32 s81, s13                                         // 00000000401C: BED1000D
	s_mov_b32 s83, s17                                         // 000000004020: BED30011
	s_mov_b32 s85, s21                                         // 000000004024: BED50015
	s_mov_b32 s71, s3                                          // 000000004028: BEC70003
	v_cvt_f32_u32_e32 v28, s44                                 // 00000000402C: 7E380C2C
	s_sub_i32 s60, 0, s44                                      // 000000004030: 81BC2C80
	v_rcp_iflag_f32_e32 v28, v28                               // 000000004034: 7E38471C
	s_nop 0                                                    // 000000004038: BF800000
	v_mul_f32_e32 v28, 0x4f7ffffe, v28                         // 00000000403C: 0A3838FF 4F7FFFFE
	v_cvt_u32_f32_e32 v28, v28                                 // 000000004044: 7E380F1C
	v_mul_lo_u32 v29, s60, v28                                 // 000000004048: D285001D 0002383C
	v_mul_hi_u32 v29, v28, v29                                 // 000000004050: D286001D 00023B1C
	v_add_u32_e32 v28, v28, v29                                // 000000004058: 68383B1C
	v_mul_hi_u32 v28, s71, v28                                 // 00000000405C: D286001C 00023847
	v_mul_lo_u32 v29, v28, s44                                 // 000000004064: D285001D 0000591C
	v_sub_u32_e32 v31, s71, v29                                // 00000000406C: 6A3E3A47
	v_add_u32_e32 v30, 1, v28                                  // 000000004070: 683C3881
	v_cmp_le_u32_e32 vcc, s44, v31                             // 000000004074: 7D963E2C
	v_subrev_u32_e32 v29, s44, v31                             // 000000004078: 6C3A3E2C
	s_nop 0                                                    // 00000000407C: BF800000
	v_cndmask_b32_e32 v28, v28, v30, vcc                       // 000000004080: 00383D1C
	v_cndmask_b32_e32 v31, v31, v29, vcc                       // 000000004084: 003E3B1F
	v_add_u32_e32 v29, 1, v28                                  // 000000004088: 683A3881
	v_cmp_le_u32_e32 vcc, s44, v31                             // 00000000408C: 7D963E2C
	s_nop 1                                                    // 000000004090: BF800001
	v_cndmask_b32_e32 v31, v28, v29, vcc                       // 000000004094: 003E3B1C
	s_nop 3                                                    // 000000004098: BF800003
	v_readfirstlane_b32 s45, v31                               // 00000000409C: 7E5A051F
	s_nop 3                                                    // 0000000040A0: BF800003
	v_mov_b32_e32 v28, s48                                     // 0000000040A4: 7E380230
	v_mul_f32_e32 v28, s49, v28                                // 0000000040A8: 0A383831
	s_mov_b32 s66, 0                                           // 0000000040AC: BEC20080
	s_mov_b32 s58, s50                                         // 0000000040B0: BEBA0032
	s_mov_b32 s59, 0                                           // 0000000040B4: BEBB0080
	s_mov_b32 s63, 0x5040100                                   // 0000000040B8: BEBF00FF 05040100
	s_mov_b32 s64, 0x7060302                                   // 0000000040C0: BEC000FF 07060302
	v_readfirstlane_b32 s57, v28                               // 0000000040C8: 7E72051C
	v_mov_b32_e32 v30, 0x3020706                               // 0000000040CC: 7E3C02FF 03020706
	v_mov_b32_e32 v28, s63                                     // 0000000040D4: 7E38023F
	v_and_b32_e32 v29, 1, v0                                   // 0000000040D8: 263A0081
	v_cmp_eq_u32_e32 vcc, 1, v29                               // 0000000040DC: 7D943A81
	s_mul_i32 s67, 16, s70                                     // 0000000040E0: 92434690
	v_cndmask_b32_e32 v17, v28, v30, vcc                       // 0000000040E4: 00223D1C
	v_mov_b32_e32 v249, 0xffff0000                             // 0000000040E8: 7FF202FF FFFF0000
	v_mov_b32_e32 v250, 0x7fff0000                             // 0000000040F0: 7FF402FF 7FFF0000
	v_mov_b32_e32 v251, 0x7fff                                 // 0000000040F8: 7FF602FF 00007FFF
	s_cmp_lt_u32 s47, 2                                        // 000000004100: BF0A822F
	s_cselect_b32 s24, s24, s28                                // 000000004104: 85181C18
	s_cselect_b32 s25, s25, s29                                // 000000004108: 85191D19
	s_cselect_b32 s26, s26, s30                                // 00000000410C: 851A1E1A
	s_cselect_b32 s27, s27, s31                                // 000000004110: 851B1F1B
	s_lshr_b32 s60, s47, 1                                     // 000000004114: 8F3C812F
	s_lshl_b32 s60, s60, 8                                     // 000000004118: 8E3C883C
	s_add_u32 s76, 0xc600, s60                                 // 00000000411C: 804C3CFF 0000C600
	s_add_u32 s77, 0x200, s76                                  // 000000004124: 804D4CFF 00000200
	s_mov_b32 m0, s76                                          // 00000000412C: BEFC004C
	v_mov_b32_e32 v151, 0xff800000                             // 000000004130: 7F2E02FF FF800000
	s_mul_i32 s68, 16, s70                                     // 000000004138: 92444690
	s_mov_b32 s69, 16                                          // 00000000413C: BEC50090
	s_mul_i32 s60, s2, s51                                     // 000000004140: 923C3302
	s_mul_i32 s61, s45, s5                                     // 000000004144: 923D052D
	s_mul_i32 s62, s4, s6                                      // 000000004148: 923E0604
	s_add_u32 s54, s60, s61                                    // 00000000414C: 80363D3C
	s_add_u32 s54, s54, s62                                    // 000000004150: 80363E36
	s_mul_i32 s61, s3, s52                                     // 000000004154: 923D3403
	s_mul_i32 s62, s4, s53                                     // 000000004158: 923E3504
	s_add_u32 s55, s61, s62                                    // 00000000415C: 80373E3D
	s_mov_b32 s56, s55                                         // 000000004160: BEB80037
	s_mul_i32 s62, s4, s87                                     // 000000004164: 923E5704
	s_mul_i32 s62, s62, s86                                    // 000000004168: 923E563E
	s_mul_i32 s61, s3, s86                                     // 00000000416C: 923D5603
	s_add_u32 s65, s61, s62                                    // 000000004170: 80413E3D
	s_mov_b32 s71, s7                                          // 000000004174: BEC70007
	v_lshrrev_b32_e32 v28, 4, v0                               // 000000004178: 20380084
	v_and_b32_e32 v29, 1, v28                                  // 00000000417C: 263A3881
	v_lshlrev_b32_e32 v29, 1, v29                              // 000000004180: 243A3A81
	v_mul_i32_i24_e32 v29, s71, v29                            // 000000004184: 0C3A3A47
	v_and_b32_e32 v30, 2, v28                                  // 000000004188: 263C3882
	v_lshlrev_b32_e32 v30, 5, v30                              // 00000000418C: 243C3C85
	v_add_u32_e32 v29, v30, v29                                // 000000004190: 683A3B1E
	v_and_b32_e32 v28, 15, v0                                  // 000000004194: 2638008F
	v_lshlrev_b32_e32 v28, 2, v28                              // 000000004198: 24383882
	v_add_u32_e32 v1, v28, v29                                 // 00000000419C: 68023B1C
	s_and_b32 s60, 1, s47                                      // 0000000041A0: 863C2F81
	s_mul_i32 s60, s60, s71                                    // 0000000041A4: 923C473C
	s_mul_i32 s60, s60, 8                                      // 0000000041A8: 923C883C
	s_lshr_b32 s61, s47, 1                                     // 0000000041AC: 8F3D812F
	s_mul_i32 s61, s61, 0x80                                   // 0000000041B0: 923DFF3D 00000080
	s_add_u32 s60, s60, s61                                    // 0000000041B8: 803C3D3C
	v_add_u32_e32 v1, s60, v1                                  // 0000000041BC: 6802023C
	v_add_u32_e32 v2, s71, v1                                  // 0000000041C0: 68040247
	s_mul_i32 s60, 4, s71                                      // 0000000041C4: 923C4784
	v_add_u32_e32 v3, s60, v1                                  // 0000000041C8: 6806023C
	v_add_u32_e32 v4, s60, v2                                  // 0000000041CC: 6808043C
	v_lshrrev_b32_e32 v1, 2, v1                                // 0000000041D0: 20020282
	v_lshrrev_b32_e32 v2, 2, v2                                // 0000000041D4: 20040482
	v_lshrrev_b32_e32 v3, 2, v3                                // 0000000041D8: 20060682
	v_lshrrev_b32_e32 v4, 2, v4                                // 0000000041DC: 20080882
	s_add_u32 s12, s54, s80                                    // 0000000041E0: 800C5036
	s_addc_u32 s13, 0, s81                                     // 0000000041E4: 820D5180
	s_add_u32 s16, s54, s82                                    // 0000000041E8: 80105236
	s_addc_u32 s17, 0, s83                                     // 0000000041EC: 82115380
	s_add_u32 s8, s55, s78                                     // 0000000041F0: 80084E37
	s_addc_u32 s9, 0, s79                                      // 0000000041F4: 82094F80
	s_add_u32 s20, s56, s84                                    // 0000000041F8: 80145438
	s_addc_u32 s21, 0, s85                                     // 0000000041FC: 82155580
	v_and_b32_e32 v11, 15, v0                                  // 000000004200: 2616008F
	v_lshlrev_b32_e32 v11, 2, v11                              // 000000004204: 24161682
	v_add_u32_e32 v11, s65, v11                                // 000000004208: 68161641
	v_lshrrev_b32_e32 v11, 2, v11                              // 00000000420C: 20161682
	v_lshrrev_b32_e32 v28, 4, v0                               // 000000004210: 20380084
	v_mul_i32_i24_e32 v5, s46, v28                             // 000000004214: 0C0A382E
	v_lshrrev_b32_e32 v5, 2, v5                                // 000000004218: 200A0A82
	v_and_b32_e32 v28, 15, v0                                  // 00000000421C: 2638008F
	v_lshlrev_b32_e32 v29, 2, v28                              // 000000004220: 243A3882
	v_add_u32_e32 v5, v29, v5                                  // 000000004224: 680A0B1D
	s_mul_i32 s60, 16, s46                                     // 000000004228: 923C2E90
	s_mul_i32 s60, s47, s60                                    // 00000000422C: 923C3C2F
	v_lshlrev_b32_e32 v5, 2, v5                                // 000000004230: 240A0A82
	v_add_u32_e32 v5, s60, v5                                  // 000000004234: 680A0A3C
	s_mul_i32 s60, 0xc0, s46                                   // 000000004238: 923C2EFF 000000C0
	s_mul_i32 s60, s2, s60                                     // 000000004240: 923C3C02
	s_mul_i32 s61, s3, s5                                      // 000000004244: 923D0503
	s_mul_i32 s62, s4, s6                                      // 000000004248: 923E0604
	s_mul_i32 s62, s62, s44                                    // 00000000424C: 923E2C3E
	s_add_u32 s60, s60, s61                                    // 000000004250: 803C3D3C
	s_add_u32 s60, s60, s62                                    // 000000004254: 803C3E3C
	v_add_u32_e32 v5, s60, v5                                  // 000000004258: 680A0A3C
	v_lshrrev_b32_e32 v5, 2, v5                                // 00000000425C: 200A0A82
	v_mov_b32_e32 v10, v5                                      // 000000004260: 7E140305
	v_lshrrev_b32_e32 v28, 5, v0                               // 000000004264: 20380085
	v_mul_i32_i24_e32 v6, s70, v28                             // 000000004268: 0C0C3846
	v_lshrrev_b32_e32 v6, 2, v6                                // 00000000426C: 200C0C82
	v_and_b32_e32 v28, 31, v0                                  // 000000004270: 2638009F
	v_add_u32_e32 v6, v28, v6                                  // 000000004274: 680C0D1C
	s_mul_i32 s60, s47, s70                                    // 000000004278: 923C462F
	v_add_u32_e32 v6, s60, v6                                  // 00000000427C: 680C0C3C
	v_lshlrev_b32_e32 v6, 2, v6                                // 000000004280: 240C0C82
	s_mul_i32 s60, 2, s70                                      // 000000004284: 923C4682
	v_add_u32_e32 v7, s60, v6                                  // 000000004288: 680E0C3C
	s_mov_b32 s72, s55                                         // 00000000428C: BEC80037
	v_add_u32_e32 v6, s72, v6                                  // 000000004290: 680C0C48
	v_add_u32_e32 v8, s72, v7                                  // 000000004294: 68100E48
	v_mov_b32_e32 v7, 0                                        // 000000004298: 7E0E0280
	v_mov_b32_e32 v9, 0                                        // 00000000429C: 7E120280
	s_mul_i32 s60, 3, s2                                       // 0000000042A0: 923C0283
	s_lshr_b32 s61, s50, 6                                     // 0000000042A4: 8F3D8632
	s_sub_i32 s73, s61, s60                                    // 0000000042A8: 81C93C3D
	s_cmp_lt_i32 s73, 3                                        // 0000000042AC: BF048349
	s_cselect_b32 s73, s73, 3                                  // 0000000042B0: 85498349
	v_and_b32_e32 v28, 31, v0                                  // 0000000042B4: 2638009F
	v_lshrrev_b32_e32 v28, 1, v28                              // 0000000042B8: 20383881
	v_and_b32_e32 v29, 1, v28                                  // 0000000042BC: 263A3881
	v_lshlrev_b32_e32 v29, 4, v29                              // 0000000042C0: 243A3A84
	v_and_b32_e32 v30, 2, v28                                  // 0000000042C4: 263C3882
	v_lshlrev_b32_e32 v30, 2, v30                              // 0000000042C8: 243C3C82
	v_add_u32_e32 v29, v30, v29                                // 0000000042CC: 683A3B1E
	v_and_b32_e32 v30, 12, v28                                 // 0000000042D0: 263C388C
	v_lshrrev_b32_e32 v30, 1, v30                              // 0000000042D4: 203C3C81
	v_add_u32_e32 v29, v30, v29                                // 0000000042D8: 683A3B1E
	v_lshrrev_b32_e32 v28, 5, v0                               // 0000000042DC: 20380085
	v_mul_i32_i24_e32 v30, 0x80, v28                           // 0000000042E0: 0C3C38FF 00000080
	v_add_u32_e32 v29, v30, v29                                // 0000000042E8: 683A3B1E
	v_and_b32_e32 v30, 1, v0                                   // 0000000042EC: 263C0081
	v_add_u32_e32 v13, v30, v29                                // 0000000042F0: 681A3B1E
	s_and_b32 s60, 1, s47                                      // 0000000042F4: 863C2F81
	s_mul_i32 s60, s60, 64                                     // 0000000042F8: 923CC03C
	s_lshr_b32 s61, s47, 1                                     // 0000000042FC: 8F3D812F
	s_mul_i32 s61, s61, 0x220                                  // 000000004300: 923DFF3D 00000220
	s_add_u32 s60, s60, s61                                    // 000000004308: 803C3D3C
	v_add_u32_e32 v13, s60, v13                                // 00000000430C: 681A1A3C
	v_lshlrev_b32_e32 v13, 2, v13                              // 000000004310: 241A1A82
	v_lshrrev_b32_e32 v28, 4, v0                               // 000000004314: 20380084
	v_and_b32_e32 v29, 1, v28                                  // 000000004318: 263A3881
	v_lshlrev_b32_e32 v29, 4, v29                              // 00000000431C: 243A3A84
	v_and_b32_e32 v30, 2, v28                                  // 000000004320: 263C3882
	v_mul_i32_i24_e32 v30, 4, v30                              // 000000004324: 0C3C3C84
	v_add_u32_e32 v29, v30, v29                                // 000000004328: 683A3B1E
	v_and_b32_e32 v28, 15, v0                                  // 00000000432C: 2638008F
	v_lshrrev_b32_e32 v30, 2, v28                              // 000000004330: 203C3882
	v_lshlrev_b32_e32 v30, 5, v30                              // 000000004334: 243C3C85
	v_add_u32_e32 v29, v30, v29                                // 000000004338: 683A3B1E
	v_and_b32_e32 v28, 3, v0                                   // 00000000433C: 26380083
	v_and_b32_e32 v30, 1, v28                                  // 000000004340: 263C3881
	v_mul_i32_i24_e32 v30, 0x108, v30                          // 000000004344: 0C3C3CFF 00000108
	v_add_u32_e32 v29, v30, v29                                // 00000000434C: 683A3B1E
	v_and_b32_e32 v30, 2, v28                                  // 000000004350: 263C3882
	v_lshlrev_b32_e32 v30, 1, v30                              // 000000004354: 243C3C81
	v_add_u32_e32 v12, v30, v29                                // 000000004358: 68183B1E
	v_lshlrev_b32_e32 v12, 2, v12                              // 00000000435C: 24181882
	s_mul_i32 s60, s47, 0x1100                                 // 000000004360: 923CFF2F 00001100
	v_add_u32_e32 v24, s60, v12                                // 000000004368: 6830183C
	v_lshrrev_b32_e32 v28, 5, v0                               // 00000000436C: 20380085
	v_mul_i32_i24_e32 v15, 0x80, v28                           // 000000004370: 0C1E38FF 00000080
	v_and_b32_e32 v28, 31, v0                                  // 000000004378: 2638009F
	v_and_b32_e32 v29, 7, v28                                  // 00000000437C: 263A3887
	v_and_b32_e32 v30, 1, v29                                  // 000000004380: 263C3A81
	v_lshlrev_b32_e32 v30, 2, v30                              // 000000004384: 243C3C82
	v_add_u32_e32 v15, v30, v15                                // 000000004388: 681E1F1E
	v_and_b32_e32 v30, 2, v29                                  // 00000000438C: 263C3A82
	v_lshlrev_b32_e32 v30, 3, v30                              // 000000004390: 243C3C83
	v_add_u32_e32 v15, v30, v15                                // 000000004394: 681E1F1E
	v_and_b32_e32 v30, 4, v29                                  // 000000004398: 263C3A84
	v_lshlrev_b32_e32 v30, 1, v30                              // 00000000439C: 243C3C81
	v_add_u32_e32 v15, v30, v15                                // 0000000043A0: 681E1F1E
	v_lshrrev_b32_e32 v29, 3, v28                              // 0000000043A4: 203A3883
	v_and_b32_e32 v30, 1, v29                                  // 0000000043A8: 263C3A81
	v_lshlrev_b32_e32 v30, 1, v30                              // 0000000043AC: 243C3C81
	v_add_u32_e32 v15, v30, v15                                // 0000000043B0: 681E1F1E
	v_and_b32_e32 v30, 2, v29                                  // 0000000043B4: 263C3A82
	v_lshrrev_b32_e32 v30, 1, v30                              // 0000000043B8: 203C3C81
	v_add_u32_e32 v15, v30, v15                                // 0000000043BC: 681E1F1E
	s_and_b32 s60, 1, s47                                      // 0000000043C0: 863C2F81
	s_mul_i32 s60, s60, 64                                     // 0000000043C4: 923CC03C
	s_lshr_b32 s61, s47, 1                                     // 0000000043C8: 8F3D812F
	s_mul_i32 s61, s61, 0x220                                  // 0000000043CC: 923DFF3D 00000220
	s_add_u32 s60, s60, s61                                    // 0000000043D4: 803C3D3C
	v_add_u32_e32 v15, s60, v15                                // 0000000043D8: 681E1E3C
	v_lshlrev_b32_e32 v15, 2, v15                              // 0000000043DC: 241E1E82
	v_and_b32_e32 v28, 15, v0                                  // 0000000043E0: 2638008F
	v_and_b32_e32 v30, 1, v28                                  // 0000000043E4: 263C3881
	v_mul_i32_i24_e32 v14, 0x108, v30                          // 0000000043E8: 0C1C3CFF 00000108
	v_and_b32_e32 v30, 2, v28                                  // 0000000043F0: 263C3882
	v_lshlrev_b32_e32 v30, 1, v30                              // 0000000043F4: 243C3C81
	v_add_u32_e32 v14, v30, v14                                // 0000000043F8: 681C1D1E
	v_and_b32_e32 v30, 4, v28                                  // 0000000043FC: 263C3884
	v_lshlrev_b32_e32 v30, 2, v30                              // 000000004400: 243C3C82
	v_add_u32_e32 v14, v30, v14                                // 000000004404: 681C1D1E
	v_and_b32_e32 v30, 8, v28                                  // 000000004408: 263C3888
	v_add_u32_e32 v14, v30, v14                                // 00000000440C: 681C1D1E
	v_lshrrev_b32_e32 v28, 4, v0                               // 000000004410: 20380084
	v_and_b32_e32 v30, 1, v28                                  // 000000004414: 263C3881
	v_lshlrev_b32_e32 v30, 5, v30                              // 000000004418: 243C3C85
	v_add_u32_e32 v14, v30, v14                                // 00000000441C: 681C1D1E
	v_and_b32_e32 v29, 2, v28                                  // 000000004420: 263A3882
	v_mul_i32_i24_e32 v30, 32, v29                             // 000000004424: 0C3C3AA0
	v_mul_i32_i24_e32 v29, 0x220, v29                          // 000000004428: 0C3A3AFF 00000220
	v_add_u32_e32 v25, v29, v14                                // 000000004430: 68321D1D
	v_add_u32_e32 v14, v30, v14                                // 000000004434: 681C1D1E
	v_lshlrev_b32_e32 v14, 2, v14                              // 000000004438: 241C1C82
	v_lshlrev_b32_e32 v25, 2, v25                              // 00000000443C: 24323282
	s_and_b32 s60, 1, s47                                      // 000000004440: 863C2F81
	s_mul_i32 s60, s60, 0x200                                  // 000000004444: 923CFF3C 00000200
	s_lshr_b32 s61, s47, 1                                     // 00000000444C: 8F3D812F
	s_mul_i32 s61, s61, 0x880                                  // 000000004450: 923DFF3D 00000880
	s_add_u32 s60, s60, s61                                    // 000000004458: 803C3D3C
	v_add_u32_e32 v25, s60, v25                                // 00000000445C: 6832323C
	v_lshrrev_b32_e32 v28, 4, v0                               // 000000004460: 20380084
	v_mul_i32_i24_e32 v23, 4, v28                              // 000000004464: 0C2E3884
	v_and_b32_e32 v29, 3, v0                                   // 000000004468: 263A0083
	v_add_u32_e32 v23, v29, v23                                // 00000000446C: 682E2F1D
	v_lshlrev_b32_e32 v23, 2, v23                              // 000000004470: 242E2E82
	v_lshrrev_b32_e32 v28, 5, v0                               // 000000004474: 20380085
	v_mul_i32_i24_e32 v21, 2, v28                              // 000000004478: 0C2A3882
	v_and_b32_e32 v28, 31, v0                                  // 00000000447C: 2638009F
	v_lshrrev_b32_e32 v28, 1, v28                              // 000000004480: 20383881
	v_mul_i32_i24_e32 v29, 34, v28                             // 000000004484: 0C3A38A2
	v_add_u32_e32 v21, v29, v21                                // 000000004488: 682A2B1D
	v_and_b32_e32 v29, 1, v0                                   // 00000000448C: 263A0081
	v_add_u32_e32 v21, v29, v21                                // 000000004490: 682A2B1D
	s_mul_i32 s60, s47, 8                                      // 000000004494: 923C882F
	v_add_u32_e32 v21, s60, v21                                // 000000004498: 682A2A3C
	v_lshlrev_b32_e32 v21, 2, v21                              // 00000000449C: 242A2A82
	v_lshrrev_b32_e32 v28, 4, v0                               // 0000000044A0: 20380084
	v_mul_i32_i24_e32 v22, 34, v28                             // 0000000044A4: 0C2C38A2
	v_and_b32_e32 v28, 15, v0                                  // 0000000044A8: 2638008F
	v_mul_i32_i24_e32 v29, 2, v28                              // 0000000044AC: 0C3A3882
	v_add_u32_e32 v22, v29, v22                                // 0000000044B0: 682C2D1D
	s_mul_i32 s60, s47, 0x110                                  // 0000000044B4: 923CFF2F 00000110
	v_add_u32_e32 v22, s60, v22                                // 0000000044BC: 682C2C3C
	v_lshlrev_b32_e32 v22, 2, v22                              // 0000000044C0: 242C2C82
	v_lshrrev_b32_e32 v28, 5, v0                               // 0000000044C4: 20380085
	v_mul_i32_i24_e32 v19, 64, v28                             // 0000000044C8: 0C2638C0
	v_and_b32_e32 v28, 31, v0                                  // 0000000044CC: 2638009F
	v_and_b32_e32 v28, 3, v28                                  // 0000000044D0: 26383883
	v_and_b32_e32 v29, 1, v28                                  // 0000000044D4: 263A3881
	v_mul_i32_i24_e32 v29, 4, v29                              // 0000000044D8: 0C3A3A84
	v_add_u32_e32 v19, v29, v19                                // 0000000044DC: 6826271D
	v_and_b32_e32 v29, 2, v28                                  // 0000000044E0: 263A3882
	v_mul_i32_i24_e32 v29, 0x44, v29                           // 0000000044E4: 0C3A3AFF 00000044
	v_add_u32_e32 v19, v29, v19                                // 0000000044EC: 6826271D
	v_and_b32_e32 v28, 31, v0                                  // 0000000044F0: 2638009F
	v_lshrrev_b32_e32 v28, 2, v28                              // 0000000044F4: 20383882
	v_lshrrev_b32_e32 v30, 2, v28                              // 0000000044F8: 203C3882
	v_mul_i32_i24_e32 v29, 16, v30                             // 0000000044FC: 0C3A3C90
	v_add_u32_e32 v19, v29, v19                                // 000000004500: 6826271D
	v_and_b32_e32 v29, 2, v28                                  // 000000004504: 263A3882
	v_lshlrev_b32_e32 v29, 4, v29                              // 000000004508: 243A3A84
	v_add_u32_e32 v19, v29, v19                                // 00000000450C: 6826271D
	v_and_b32_e32 v29, 1, v28                                  // 000000004510: 263A3881
	v_xor_b32_e32 v29, v30, v29                                // 000000004514: 2A3A3B1E
	v_mul_i32_i24_e32 v29, 8, v29                              // 000000004518: 0C3A3A88
	v_add_u32_e32 v19, v29, v19                                // 00000000451C: 6826271D
	v_lshlrev_b32_e32 v19, 2, v19                              // 000000004520: 24262682
	v_lshrrev_b32_e32 v28, 5, v0                               // 000000004524: 20380085
	v_mul_i32_i24_e32 v20, 32, v28                             // 000000004528: 0C2838A0
	v_and_b32_e32 v28, 31, v0                                  // 00000000452C: 2638009F
	v_and_b32_e32 v28, 3, v28                                  // 000000004530: 26383883
	v_and_b32_e32 v29, 1, v28                                  // 000000004534: 263A3881
	v_mul_i32_i24_e32 v29, 4, v29                              // 000000004538: 0C3A3A84
	v_add_u32_e32 v20, v29, v20                                // 00000000453C: 6828291D
	v_and_b32_e32 v29, 2, v28                                  // 000000004540: 263A3882
	v_lshrrev_b32_e32 v29, 1, v29                              // 000000004544: 203A3A81
	v_add_u32_e32 v20, v29, v20                                // 000000004548: 6828291D
	v_and_b32_e32 v28, 31, v0                                  // 00000000454C: 2638009F
	v_lshrrev_b32_e32 v28, 2, v28                              // 000000004550: 20383882
	v_and_b32_e32 v30, 1, v28                                  // 000000004554: 263C3881
	v_mul_i32_i24_e32 v29, 16, v30                             // 000000004558: 0C3A3C90
	v_add_u32_e32 v20, v29, v20                                // 00000000455C: 6828291D
	v_and_b32_e32 v29, 2, v28                                  // 000000004560: 263A3882
	v_add_u32_e32 v20, v29, v20                                // 000000004564: 6828291D
	v_lshrrev_b32_e32 v29, 2, v28                              // 000000004568: 203A3882
	v_xor_b32_e32 v29, v30, v29                                // 00000000456C: 2A3A3B1E
	v_mul_i32_i24_e32 v29, 8, v29                              // 000000004570: 0C3A3A88
	v_add_u32_e32 v20, v29, v20                                // 000000004574: 6828291D
	s_and_b32 s60, 1, s47                                      // 000000004578: 863C2F81
	s_mul_i32 s60, s60, 64                                     // 00000000457C: 923CC03C
	s_lshr_b32 s61, s47, 1                                     // 000000004580: 8F3D812F
	s_mul_i32 s61, s61, 0x120                                  // 000000004584: 923DFF3D 00000120
	s_add_u32 s60, s60, s61                                    // 00000000458C: 803C3D3C
	v_add_u32_e32 v20, s60, v20                                // 000000004590: 6828283C
	v_lshlrev_b32_e32 v20, 2, v20                              // 000000004594: 24282882
	buffer_load_dword v152, v1, s[12:15], 0 idxen              // 000000004598: E0502000 80039801
	buffer_load_dword v153, v2, s[12:15], 0 idxen              // 0000000045A0: E0502000 80039902
	buffer_load_dword v154, v3, s[12:15], 0 idxen              // 0000000045A8: E0502000 80039A03
	buffer_load_dword v155, v4, s[12:15], 0 idxen              // 0000000045B0: E0502000 80039B04
	s_mul_i32 s60, 16, s7                                      // 0000000045B8: 923C0790
	s_cmp_lt_i32 0, s73                                        // 0000000045BC: BF044980
	s_cselect_b32 s60, s60, 0                                  // 0000000045C0: 853C803C
	s_add_u32 s12, s60, s12                                    // 0000000045C4: 800C0C3C
	s_addc_u32 s13, 0, s13                                     // 0000000045C8: 820D0D80
	buffer_load_dword v156, v1, s[12:15], 0 idxen              // 0000000045CC: E0502000 80039C01
	buffer_load_dword v157, v2, s[12:15], 0 idxen              // 0000000045D4: E0502000 80039D02
	buffer_load_dword v158, v3, s[12:15], 0 idxen              // 0000000045DC: E0502000 80039E03
	buffer_load_dword v159, v4, s[12:15], 0 idxen              // 0000000045E4: E0502000 80039F04
	s_mul_i32 s60, 16, s7                                      // 0000000045EC: 923C0790
	s_cmp_lt_i32 0, s73                                        // 0000000045F0: BF044980
	s_cselect_b32 s60, s60, 0                                  // 0000000045F4: 853C803C
	s_add_u32 s12, s60, s12                                    // 0000000045F8: 800C0C3C
	s_addc_u32 s13, 0, s13                                     // 0000000045FC: 820D0D80
	buffer_load_dword v160, v1, s[12:15], 0 idxen              // 000000004600: E0502000 8003A001
	buffer_load_dword v161, v2, s[12:15], 0 idxen              // 000000004608: E0502000 8003A102
	buffer_load_dword v162, v3, s[12:15], 0 idxen              // 000000004610: E0502000 8003A203
	buffer_load_dword v163, v4, s[12:15], 0 idxen              // 000000004618: E0502000 8003A304
	s_mul_i32 s60, 16, s7                                      // 000000004620: 923C0790
	s_cmp_lt_i32 0, s73                                        // 000000004624: BF044980
	s_cselect_b32 s60, s60, 0                                  // 000000004628: 853C803C
	s_add_u32 s12, s60, s12                                    // 00000000462C: 800C0C3C
	s_addc_u32 s13, 0, s13                                     // 000000004630: 820D0D80
	buffer_load_dword v164, v1, s[12:15], 0 idxen              // 000000004634: E0502000 8003A401
	buffer_load_dword v165, v2, s[12:15], 0 idxen              // 00000000463C: E0502000 8003A502
	buffer_load_dword v166, v3, s[12:15], 0 idxen              // 000000004644: E0502000 8003A603
	buffer_load_dword v167, v4, s[12:15], 0 idxen              // 00000000464C: E0502000 8003A704
	s_mul_i32 s60, 16, s7                                      // 000000004654: 923C0790
	s_cmp_lt_i32 1, s73                                        // 000000004658: BF044981
	s_cselect_b32 s60, s60, 0                                  // 00000000465C: 853C803C
	s_add_u32 s12, s60, s12                                    // 000000004660: 800C0C3C
	s_addc_u32 s13, 0, s13                                     // 000000004664: 820D0D80
	buffer_load_dword v168, v1, s[12:15], 0 idxen              // 000000004668: E0502000 8003A801
	buffer_load_dword v169, v2, s[12:15], 0 idxen              // 000000004670: E0502000 8003A902
	buffer_load_dword v170, v3, s[12:15], 0 idxen              // 000000004678: E0502000 8003AA03
	buffer_load_dword v171, v4, s[12:15], 0 idxen              // 000000004680: E0502000 8003AB04
	s_mul_i32 s60, 16, s7                                      // 000000004688: 923C0790
	s_cmp_lt_i32 1, s73                                        // 00000000468C: BF044981
	s_cselect_b32 s60, s60, 0                                  // 000000004690: 853C803C
	s_add_u32 s12, s60, s12                                    // 000000004694: 800C0C3C
	s_addc_u32 s13, 0, s13                                     // 000000004698: 820D0D80
	buffer_load_dword v172, v1, s[12:15], 0 idxen              // 00000000469C: E0502000 8003AC01
	buffer_load_dword v173, v2, s[12:15], 0 idxen              // 0000000046A4: E0502000 8003AD02
	buffer_load_dword v174, v3, s[12:15], 0 idxen              // 0000000046AC: E0502000 8003AE03
	buffer_load_dword v175, v4, s[12:15], 0 idxen              // 0000000046B4: E0502000 8003AF04
	s_mul_i32 s60, 16, s7                                      // 0000000046BC: 923C0790
	s_cmp_lt_i32 1, s73                                        // 0000000046C0: BF044981
	s_cselect_b32 s60, s60, 0                                  // 0000000046C4: 853C803C
	s_add_u32 s12, s60, s12                                    // 0000000046C8: 800C0C3C
	s_addc_u32 s13, 0, s13                                     // 0000000046CC: 820D0D80
	buffer_load_dword v176, v1, s[12:15], 0 idxen              // 0000000046D0: E0502000 8003B001
	buffer_load_dword v177, v2, s[12:15], 0 idxen              // 0000000046D8: E0502000 8003B102
	buffer_load_dword v178, v3, s[12:15], 0 idxen              // 0000000046E0: E0502000 8003B203
	buffer_load_dword v179, v4, s[12:15], 0 idxen              // 0000000046E8: E0502000 8003B304
	s_mul_i32 s60, 16, s7                                      // 0000000046F0: 923C0790
	s_cmp_lt_i32 1, s73                                        // 0000000046F4: BF044981
	s_cselect_b32 s60, s60, 0                                  // 0000000046F8: 853C803C
	s_add_u32 s12, s60, s12                                    // 0000000046FC: 800C0C3C
	s_addc_u32 s13, 0, s13                                     // 000000004700: 820D0D80
	buffer_load_dword v180, v1, s[12:15], 0 idxen              // 000000004704: E0502000 8003B401
	buffer_load_dword v181, v2, s[12:15], 0 idxen              // 00000000470C: E0502000 8003B502
	buffer_load_dword v182, v3, s[12:15], 0 idxen              // 000000004714: E0502000 8003B603
	buffer_load_dword v183, v4, s[12:15], 0 idxen              // 00000000471C: E0502000 8003B704
	s_mul_i32 s60, 16, s7                                      // 000000004724: 923C0790
	s_cmp_lt_i32 2, s73                                        // 000000004728: BF044982
	s_cselect_b32 s60, s60, 0                                  // 00000000472C: 853C803C
	s_add_u32 s12, s60, s12                                    // 000000004730: 800C0C3C
	s_addc_u32 s13, 0, s13                                     // 000000004734: 820D0D80
	buffer_load_dword v184, v1, s[12:15], 0 idxen              // 000000004738: E0502000 8003B801
	buffer_load_dword v185, v2, s[12:15], 0 idxen              // 000000004740: E0502000 8003B902
	buffer_load_dword v186, v3, s[12:15], 0 idxen              // 000000004748: E0502000 8003BA03
	buffer_load_dword v187, v4, s[12:15], 0 idxen              // 000000004750: E0502000 8003BB04
	s_mul_i32 s60, 16, s7                                      // 000000004758: 923C0790
	s_cmp_lt_i32 2, s73                                        // 00000000475C: BF044982
	s_cselect_b32 s60, s60, 0                                  // 000000004760: 853C803C
	s_add_u32 s12, s60, s12                                    // 000000004764: 800C0C3C
	s_addc_u32 s13, 0, s13                                     // 000000004768: 820D0D80
	buffer_load_dword v188, v1, s[12:15], 0 idxen              // 00000000476C: E0502000 8003BC01
	buffer_load_dword v189, v2, s[12:15], 0 idxen              // 000000004774: E0502000 8003BD02
	buffer_load_dword v190, v3, s[12:15], 0 idxen              // 00000000477C: E0502000 8003BE03
	buffer_load_dword v191, v4, s[12:15], 0 idxen              // 000000004784: E0502000 8003BF04
	s_mul_i32 s60, 16, s7                                      // 00000000478C: 923C0790
	s_cmp_lt_i32 2, s73                                        // 000000004790: BF044982
	s_cselect_b32 s60, s60, 0                                  // 000000004794: 853C803C
	s_add_u32 s12, s60, s12                                    // 000000004798: 800C0C3C
	s_addc_u32 s13, 0, s13                                     // 00000000479C: 820D0D80
	buffer_load_dword v192, v1, s[12:15], 0 idxen              // 0000000047A0: E0502000 8003C001
	buffer_load_dword v193, v2, s[12:15], 0 idxen              // 0000000047A8: E0502000 8003C102
	buffer_load_dword v194, v3, s[12:15], 0 idxen              // 0000000047B0: E0502000 8003C203
	buffer_load_dword v195, v4, s[12:15], 0 idxen              // 0000000047B8: E0502000 8003C304
	s_mul_i32 s60, 16, s7                                      // 0000000047C0: 923C0790
	s_cmp_lt_i32 2, s73                                        // 0000000047C4: BF044982
	s_cselect_b32 s60, s60, 0                                  // 0000000047C8: 853C803C
	s_add_u32 s12, s60, s12                                    // 0000000047CC: 800C0C3C
	s_addc_u32 s13, 0, s13                                     // 0000000047D0: 820D0D80
	buffer_load_dword v196, v1, s[12:15], 0 idxen              // 0000000047D4: E0502000 8003C401
	buffer_load_dword v197, v2, s[12:15], 0 idxen              // 0000000047DC: E0502000 8003C502
	buffer_load_dword v198, v3, s[12:15], 0 idxen              // 0000000047E4: E0502000 8003C603
	buffer_load_dword v199, v4, s[12:15], 0 idxen              // 0000000047EC: E0502000 8003C704
	s_mul_i32 s60, 16, s7                                      // 0000000047F4: 923C0790
	s_cmp_lt_i32 3, s73                                        // 0000000047F8: BF044983
	s_cselect_b32 s60, s60, 0                                  // 0000000047FC: 853C803C
	s_add_u32 s12, s60, s12                                    // 000000004800: 800C0C3C
	s_addc_u32 s13, 0, s13                                     // 000000004804: 820D0D80
	s_waitcnt vmcnt(32) lgkmcnt(0)                             // 000000004808: BF8C8070
	s_barrier                                                  // 00000000480C: BF8A0000
	s_cmp_lt_i32 0, s73                                        // 000000004810: BF044980
	s_cbranch_scc1 label_0296                                  // 000000004814: BF850010
	v_mov_b32_e32 v152, 0                                      // 000000004818: 7F300280
	v_mov_b32_e32 v153, 0                                      // 00000000481C: 7F320280
	v_mov_b32_e32 v154, 0                                      // 000000004820: 7F340280
	v_mov_b32_e32 v155, 0                                      // 000000004824: 7F360280
	v_mov_b32_e32 v156, 0                                      // 000000004828: 7F380280
	v_mov_b32_e32 v157, 0                                      // 00000000482C: 7F3A0280
	v_mov_b32_e32 v158, 0                                      // 000000004830: 7F3C0280
	v_mov_b32_e32 v159, 0                                      // 000000004834: 7F3E0280
	v_mov_b32_e32 v160, 0                                      // 000000004838: 7F400280
	v_mov_b32_e32 v161, 0                                      // 00000000483C: 7F420280
	v_mov_b32_e32 v162, 0                                      // 000000004840: 7F440280
	v_mov_b32_e32 v163, 0                                      // 000000004844: 7F460280
	v_mov_b32_e32 v164, 0                                      // 000000004848: 7F480280
	v_mov_b32_e32 v165, 0                                      // 00000000484C: 7F4A0280
	v_mov_b32_e32 v166, 0                                      // 000000004850: 7F4C0280
	v_mov_b32_e32 v167, 0                                      // 000000004854: 7F4E0280

0000000000004858 <label_0296>:
	v_perm_b32 v200, v153, v152, s63                           // 000000004858: D1ED00C8 00FF3199
	v_perm_b32 v201, v153, v152, s64                           // 000000004860: D1ED00C9 01033199
	v_perm_b32 v202, v155, v154, s63                           // 000000004868: D1ED00CA 00FF359B
	v_perm_b32 v203, v155, v154, s64                           // 000000004870: D1ED00CB 0103359B
	v_perm_b32 v204, v157, v156, s63                           // 000000004878: D1ED00CC 00FF399D
	v_perm_b32 v205, v157, v156, s64                           // 000000004880: D1ED00CD 0103399D
	v_perm_b32 v206, v159, v158, s63                           // 000000004888: D1ED00CE 00FF3D9F
	v_perm_b32 v207, v159, v158, s64                           // 000000004890: D1ED00CF 01033D9F
	v_perm_b32 v208, v161, v160, s63                           // 000000004898: D1ED00D0 00FF41A1
	v_perm_b32 v209, v161, v160, s64                           // 0000000048A0: D1ED00D1 010341A1
	v_perm_b32 v210, v163, v162, s63                           // 0000000048A8: D1ED00D2 00FF45A3
	v_perm_b32 v211, v163, v162, s64                           // 0000000048B0: D1ED00D3 010345A3
	v_perm_b32 v212, v165, v164, s63                           // 0000000048B8: D1ED00D4 00FF49A5
	v_perm_b32 v213, v165, v164, s64                           // 0000000048C0: D1ED00D5 010349A5
	v_perm_b32 v214, v167, v166, s63                           // 0000000048C8: D1ED00D6 00FF4DA7
	v_perm_b32 v215, v167, v166, s64                           // 0000000048D0: D1ED00D7 01034DA7
	ds_write_b32 v15, v200 offset:17408                        // 0000000048D8: D81A4400 0000C80F
	ds_write_b32 v15, v201 offset:18464                        // 0000000048E0: D81A4820 0000C90F
	ds_write_b32 v15, v202 offset:17536                        // 0000000048E8: D81A4480 0000CA0F
	ds_write_b32 v15, v203 offset:18592                        // 0000000048F0: D81A48A0 0000CB0F
	ds_write_b32 v15, v204 offset:21760                        // 0000000048F8: D81A5500 0000CC0F
	ds_write_b32 v15, v205 offset:22816                        // 000000004900: D81A5920 0000CD0F
	ds_write_b32 v15, v206 offset:21888                        // 000000004908: D81A5580 0000CE0F
	ds_write_b32 v15, v207 offset:22944                        // 000000004910: D81A59A0 0000CF0F
	ds_write_b32 v15, v208 offset:26112                        // 000000004918: D81A6600 0000D00F
	ds_write_b32 v15, v209 offset:27168                        // 000000004920: D81A6A20 0000D10F
	ds_write_b32 v15, v210 offset:26240                        // 000000004928: D81A6680 0000D20F
	ds_write_b32 v15, v211 offset:27296                        // 000000004930: D81A6AA0 0000D30F
	ds_write_b32 v15, v212 offset:30464                        // 000000004938: D81A7700 0000D40F
	ds_write_b32 v15, v213 offset:31520                        // 000000004940: D81A7B20 0000D50F
	ds_write_b32 v15, v214 offset:30592                        // 000000004948: D81A7780 0000D60F
	ds_write_b32 v15, v215 offset:31648                        // 000000004950: D81A7BA0 0000D70F
	ds_write_b32 v13, v152                                     // 000000004958: D81A0000 0000980D
	ds_write_b32 v13, v153 offset:1056                         // 000000004960: D81A0420 0000990D
	ds_write_b32 v13, v154 offset:128                          // 000000004968: D81A0080 00009A0D
	ds_write_b32 v13, v155 offset:1184                         // 000000004970: D81A04A0 00009B0D
	ds_write_b32 v13, v156 offset:4352                         // 000000004978: D81A1100 00009C0D
	ds_write_b32 v13, v157 offset:5408                         // 000000004980: D81A1520 00009D0D
	ds_write_b32 v13, v158 offset:4480                         // 000000004988: D81A1180 00009E0D
	ds_write_b32 v13, v159 offset:5536                         // 000000004990: D81A15A0 00009F0D
	ds_write_b32 v13, v160 offset:8704                         // 000000004998: D81A2200 0000A00D
	ds_write_b32 v13, v161 offset:9760                         // 0000000049A0: D81A2620 0000A10D
	ds_write_b32 v13, v162 offset:8832                         // 0000000049A8: D81A2280 0000A20D
	ds_write_b32 v13, v163 offset:9888                         // 0000000049B0: D81A26A0 0000A30D
	ds_write_b32 v13, v164 offset:13056                        // 0000000049B8: D81A3300 0000A40D
	ds_write_b32 v13, v165 offset:14112                        // 0000000049C0: D81A3720 0000A50D
	ds_write_b32 v13, v166 offset:13184                        // 0000000049C8: D81A3380 0000A60D
	ds_write_b32 v13, v167 offset:14240                        // 0000000049D0: D81A37A0 0000A70D
	buffer_load_dword v152, v1, s[16:19], 0 idxen              // 0000000049D8: E0502000 80049801
	buffer_load_dword v153, v2, s[16:19], 0 idxen              // 0000000049E0: E0502000 80049902
	buffer_load_dword v154, v3, s[16:19], 0 idxen              // 0000000049E8: E0502000 80049A03
	buffer_load_dword v155, v4, s[16:19], 0 idxen              // 0000000049F0: E0502000 80049B04
	s_mul_i32 s60, 16, s7                                      // 0000000049F8: 923C0790
	s_cmp_lt_i32 0, s73                                        // 0000000049FC: BF044980
	s_cselect_b32 s60, s60, 0                                  // 000000004A00: 853C803C
	s_add_u32 s16, s60, s16                                    // 000000004A04: 8010103C
	s_addc_u32 s17, 0, s17                                     // 000000004A08: 82111180
	buffer_load_dword v156, v1, s[16:19], 0 idxen              // 000000004A0C: E0502000 80049C01
	buffer_load_dword v157, v2, s[16:19], 0 idxen              // 000000004A14: E0502000 80049D02
	buffer_load_dword v158, v3, s[16:19], 0 idxen              // 000000004A1C: E0502000 80049E03
	buffer_load_dword v159, v4, s[16:19], 0 idxen              // 000000004A24: E0502000 80049F04
	s_mul_i32 s60, 16, s7                                      // 000000004A2C: 923C0790
	s_cmp_lt_i32 0, s73                                        // 000000004A30: BF044980
	s_cselect_b32 s60, s60, 0                                  // 000000004A34: 853C803C
	s_add_u32 s16, s60, s16                                    // 000000004A38: 8010103C
	s_addc_u32 s17, 0, s17                                     // 000000004A3C: 82111180
	buffer_load_dword v160, v1, s[16:19], 0 idxen              // 000000004A40: E0502000 8004A001
	buffer_load_dword v161, v2, s[16:19], 0 idxen              // 000000004A48: E0502000 8004A102
	buffer_load_dword v162, v3, s[16:19], 0 idxen              // 000000004A50: E0502000 8004A203
	buffer_load_dword v163, v4, s[16:19], 0 idxen              // 000000004A58: E0502000 8004A304
	s_mul_i32 s60, 16, s7                                      // 000000004A60: 923C0790
	s_cmp_lt_i32 0, s73                                        // 000000004A64: BF044980
	s_cselect_b32 s60, s60, 0                                  // 000000004A68: 853C803C
	s_add_u32 s16, s60, s16                                    // 000000004A6C: 8010103C
	s_addc_u32 s17, 0, s17                                     // 000000004A70: 82111180
	buffer_load_dword v164, v1, s[16:19], 0 idxen              // 000000004A74: E0502000 8004A401
	buffer_load_dword v165, v2, s[16:19], 0 idxen              // 000000004A7C: E0502000 8004A502
	buffer_load_dword v166, v3, s[16:19], 0 idxen              // 000000004A84: E0502000 8004A603
	buffer_load_dword v167, v4, s[16:19], 0 idxen              // 000000004A8C: E0502000 8004A704
	s_mul_i32 s60, 16, s7                                      // 000000004A94: 923C0790
	s_cmp_lt_i32 1, s73                                        // 000000004A98: BF044981
	s_cselect_b32 s60, s60, 0                                  // 000000004A9C: 853C803C
	s_add_u32 s16, s60, s16                                    // 000000004AA0: 8010103C
	s_addc_u32 s17, 0, s17                                     // 000000004AA4: 82111180
	s_waitcnt lgkmcnt(0)                                       // 000000004AA8: BF8CC07F
	s_barrier                                                  // 000000004AAC: BF8A0000
	ds_read_b128 a[48:51], v25 offset:17408                    // 000000004AB0: DBFE4400 30000019
	ds_read_b128 a[52:55], v25 offset:17664                    // 000000004AB8: DBFE4500 34000019
	ds_read_b128 a[56:59], v25 offset:26112                    // 000000004AC0: DBFE6600 38000019
	ds_read_b128 a[60:63], v25 offset:26368                    // 000000004AC8: DBFE6700 3C000019
	ds_read_b128 a[0:3], v24                                   // 000000004AD0: DBFE0000 00000018
	ds_read_b128 a[4:7], v24 offset:512                        // 000000004AD8: DBFE0200 04000018
	ds_read_b128 a[8:11], v24 offset:2176                      // 000000004AE0: DBFE0880 08000018
	ds_read_b128 a[12:15], v24 offset:2688                     // 000000004AE8: DBFE0A80 0C000018
	s_waitcnt vmcnt(32) lgkmcnt(0)                             // 000000004AF0: BF8C8070
	s_barrier                                                  // 000000004AF4: BF8A0000
	s_cmp_lt_i32 1, s73                                        // 000000004AF8: BF044981
	s_cbranch_scc1 label_0350                                  // 000000004AFC: BF850010
	v_mov_b32_e32 v168, 0                                      // 000000004B00: 7F500280
	v_mov_b32_e32 v169, 0                                      // 000000004B04: 7F520280
	v_mov_b32_e32 v170, 0                                      // 000000004B08: 7F540280
	v_mov_b32_e32 v171, 0                                      // 000000004B0C: 7F560280
	v_mov_b32_e32 v172, 0                                      // 000000004B10: 7F580280
	v_mov_b32_e32 v173, 0                                      // 000000004B14: 7F5A0280
	v_mov_b32_e32 v174, 0                                      // 000000004B18: 7F5C0280
	v_mov_b32_e32 v175, 0                                      // 000000004B1C: 7F5E0280
	v_mov_b32_e32 v176, 0                                      // 000000004B20: 7F600280
	v_mov_b32_e32 v177, 0                                      // 000000004B24: 7F620280
	v_mov_b32_e32 v178, 0                                      // 000000004B28: 7F640280
	v_mov_b32_e32 v179, 0                                      // 000000004B2C: 7F660280
	v_mov_b32_e32 v180, 0                                      // 000000004B30: 7F680280
	v_mov_b32_e32 v181, 0                                      // 000000004B34: 7F6A0280
	v_mov_b32_e32 v182, 0                                      // 000000004B38: 7F6C0280
	v_mov_b32_e32 v183, 0                                      // 000000004B3C: 7F6E0280

0000000000004b40 <label_0350>:
	v_perm_b32 v200, v169, v168, s63                           // 000000004B40: D1ED00C8 00FF51A9
	v_perm_b32 v201, v169, v168, s64                           // 000000004B48: D1ED00C9 010351A9
	v_perm_b32 v202, v171, v170, s63                           // 000000004B50: D1ED00CA 00FF55AB
	v_perm_b32 v203, v171, v170, s64                           // 000000004B58: D1ED00CB 010355AB
	v_perm_b32 v204, v173, v172, s63                           // 000000004B60: D1ED00CC 00FF59AD
	v_perm_b32 v205, v173, v172, s64                           // 000000004B68: D1ED00CD 010359AD
	v_perm_b32 v206, v175, v174, s63                           // 000000004B70: D1ED00CE 00FF5DAF
	v_perm_b32 v207, v175, v174, s64                           // 000000004B78: D1ED00CF 01035DAF
	v_perm_b32 v208, v177, v176, s63                           // 000000004B80: D1ED00D0 00FF61B1
	v_perm_b32 v209, v177, v176, s64                           // 000000004B88: D1ED00D1 010361B1
	v_perm_b32 v210, v179, v178, s63                           // 000000004B90: D1ED00D2 00FF65B3
	v_perm_b32 v211, v179, v178, s64                           // 000000004B98: D1ED00D3 010365B3
	v_perm_b32 v212, v181, v180, s63                           // 000000004BA0: D1ED00D4 00FF69B5
	v_perm_b32 v213, v181, v180, s64                           // 000000004BA8: D1ED00D5 010369B5
	v_perm_b32 v214, v183, v182, s63                           // 000000004BB0: D1ED00D6 00FF6DB7
	v_perm_b32 v215, v183, v182, s64                           // 000000004BB8: D1ED00D7 01036DB7
	ds_write_b32 v15, v200 offset:17408                        // 000000004BC0: D81A4400 0000C80F
	ds_write_b32 v15, v201 offset:18464                        // 000000004BC8: D81A4820 0000C90F
	ds_write_b32 v15, v202 offset:17536                        // 000000004BD0: D81A4480 0000CA0F
	ds_write_b32 v15, v203 offset:18592                        // 000000004BD8: D81A48A0 0000CB0F
	ds_write_b32 v15, v204 offset:21760                        // 000000004BE0: D81A5500 0000CC0F
	ds_write_b32 v15, v205 offset:22816                        // 000000004BE8: D81A5920 0000CD0F
	ds_write_b32 v15, v206 offset:21888                        // 000000004BF0: D81A5580 0000CE0F
	ds_write_b32 v15, v207 offset:22944                        // 000000004BF8: D81A59A0 0000CF0F
	ds_write_b32 v15, v208 offset:26112                        // 000000004C00: D81A6600 0000D00F
	ds_write_b32 v15, v209 offset:27168                        // 000000004C08: D81A6A20 0000D10F
	ds_write_b32 v15, v210 offset:26240                        // 000000004C10: D81A6680 0000D20F
	ds_write_b32 v15, v211 offset:27296                        // 000000004C18: D81A6AA0 0000D30F
	ds_write_b32 v15, v212 offset:30464                        // 000000004C20: D81A7700 0000D40F
	ds_write_b32 v15, v213 offset:31520                        // 000000004C28: D81A7B20 0000D50F
	ds_write_b32 v15, v214 offset:30592                        // 000000004C30: D81A7780 0000D60F
	ds_write_b32 v15, v215 offset:31648                        // 000000004C38: D81A7BA0 0000D70F
	ds_write_b32 v13, v168                                     // 000000004C40: D81A0000 0000A80D
	ds_write_b32 v13, v169 offset:1056                         // 000000004C48: D81A0420 0000A90D
	ds_write_b32 v13, v170 offset:128                          // 000000004C50: D81A0080 0000AA0D
	ds_write_b32 v13, v171 offset:1184                         // 000000004C58: D81A04A0 0000AB0D
	ds_write_b32 v13, v172 offset:4352                         // 000000004C60: D81A1100 0000AC0D
	ds_write_b32 v13, v173 offset:5408                         // 000000004C68: D81A1520 0000AD0D
	ds_write_b32 v13, v174 offset:4480                         // 000000004C70: D81A1180 0000AE0D
	ds_write_b32 v13, v175 offset:5536                         // 000000004C78: D81A15A0 0000AF0D
	ds_write_b32 v13, v176 offset:8704                         // 000000004C80: D81A2200 0000B00D
	ds_write_b32 v13, v177 offset:9760                         // 000000004C88: D81A2620 0000B10D
	ds_write_b32 v13, v178 offset:8832                         // 000000004C90: D81A2280 0000B20D
	ds_write_b32 v13, v179 offset:9888                         // 000000004C98: D81A26A0 0000B30D
	ds_write_b32 v13, v180 offset:13056                        // 000000004CA0: D81A3300 0000B40D
	ds_write_b32 v13, v181 offset:14112                        // 000000004CA8: D81A3720 0000B50D
	ds_write_b32 v13, v182 offset:13184                        // 000000004CB0: D81A3380 0000B60D
	ds_write_b32 v13, v183 offset:14240                        // 000000004CB8: D81A37A0 0000B70D
	buffer_load_dword v168, v1, s[16:19], 0 idxen              // 000000004CC0: E0502000 8004A801
	buffer_load_dword v169, v2, s[16:19], 0 idxen              // 000000004CC8: E0502000 8004A902
	buffer_load_dword v170, v3, s[16:19], 0 idxen              // 000000004CD0: E0502000 8004AA03
	buffer_load_dword v171, v4, s[16:19], 0 idxen              // 000000004CD8: E0502000 8004AB04
	s_mul_i32 s60, 16, s7                                      // 000000004CE0: 923C0790
	s_cmp_lt_i32 1, s73                                        // 000000004CE4: BF044981
	s_cselect_b32 s60, s60, 0                                  // 000000004CE8: 853C803C
	s_add_u32 s16, s60, s16                                    // 000000004CEC: 8010103C
	s_addc_u32 s17, 0, s17                                     // 000000004CF0: 82111180
	buffer_load_dword v172, v1, s[16:19], 0 idxen              // 000000004CF4: E0502000 8004AC01
	buffer_load_dword v173, v2, s[16:19], 0 idxen              // 000000004CFC: E0502000 8004AD02
	buffer_load_dword v174, v3, s[16:19], 0 idxen              // 000000004D04: E0502000 8004AE03
	buffer_load_dword v175, v4, s[16:19], 0 idxen              // 000000004D0C: E0502000 8004AF04
	s_mul_i32 s60, 16, s7                                      // 000000004D14: 923C0790
	s_cmp_lt_i32 1, s73                                        // 000000004D18: BF044981
	s_cselect_b32 s60, s60, 0                                  // 000000004D1C: 853C803C
	s_add_u32 s16, s60, s16                                    // 000000004D20: 8010103C
	s_addc_u32 s17, 0, s17                                     // 000000004D24: 82111180
	buffer_load_dword v176, v1, s[16:19], 0 idxen              // 000000004D28: E0502000 8004B001
	buffer_load_dword v177, v2, s[16:19], 0 idxen              // 000000004D30: E0502000 8004B102
	buffer_load_dword v178, v3, s[16:19], 0 idxen              // 000000004D38: E0502000 8004B203
	buffer_load_dword v179, v4, s[16:19], 0 idxen              // 000000004D40: E0502000 8004B304
	s_mul_i32 s60, 16, s7                                      // 000000004D48: 923C0790
	s_cmp_lt_i32 1, s73                                        // 000000004D4C: BF044981
	s_cselect_b32 s60, s60, 0                                  // 000000004D50: 853C803C
	s_add_u32 s16, s60, s16                                    // 000000004D54: 8010103C
	s_addc_u32 s17, 0, s17                                     // 000000004D58: 82111180
	buffer_load_dword v180, v1, s[16:19], 0 idxen              // 000000004D5C: E0502000 8004B401
	buffer_load_dword v181, v2, s[16:19], 0 idxen              // 000000004D64: E0502000 8004B502
	buffer_load_dword v182, v3, s[16:19], 0 idxen              // 000000004D6C: E0502000 8004B603
	buffer_load_dword v183, v4, s[16:19], 0 idxen              // 000000004D74: E0502000 8004B704
	s_mul_i32 s60, 16, s7                                      // 000000004D7C: 923C0790
	s_cmp_lt_i32 2, s73                                        // 000000004D80: BF044982
	s_cselect_b32 s60, s60, 0                                  // 000000004D84: 853C803C
	s_add_u32 s16, s60, s16                                    // 000000004D88: 8010103C
	s_addc_u32 s17, 0, s17                                     // 000000004D8C: 82111180
	s_waitcnt lgkmcnt(0)                                       // 000000004D90: BF8CC07F
	s_barrier                                                  // 000000004D94: BF8A0000
	ds_read_b128 a[64:67], v25 offset:17408                    // 000000004D98: DBFE4400 40000019
	ds_read_b128 a[68:71], v25 offset:17664                    // 000000004DA0: DBFE4500 44000019
	ds_read_b128 a[72:75], v25 offset:26112                    // 000000004DA8: DBFE6600 48000019
	ds_read_b128 a[76:79], v25 offset:26368                    // 000000004DB0: DBFE6700 4C000019
	ds_read_b128 a[16:19], v24                                 // 000000004DB8: DBFE0000 10000018
	ds_read_b128 a[20:23], v24 offset:512                      // 000000004DC0: DBFE0200 14000018
	ds_read_b128 a[24:27], v24 offset:2176                     // 000000004DC8: DBFE0880 18000018
	ds_read_b128 a[28:31], v24 offset:2688                     // 000000004DD0: DBFE0A80 1C000018
	s_waitcnt vmcnt(32) lgkmcnt(0)                             // 000000004DD8: BF8C8070
	s_barrier                                                  // 000000004DDC: BF8A0000
	s_cmp_lt_i32 2, s73                                        // 000000004DE0: BF044982
	s_cbranch_scc1 label_040A                                  // 000000004DE4: BF850010
	v_mov_b32_e32 v184, 0                                      // 000000004DE8: 7F700280
	v_mov_b32_e32 v185, 0                                      // 000000004DEC: 7F720280
	v_mov_b32_e32 v186, 0                                      // 000000004DF0: 7F740280
	v_mov_b32_e32 v187, 0                                      // 000000004DF4: 7F760280
	v_mov_b32_e32 v188, 0                                      // 000000004DF8: 7F780280
	v_mov_b32_e32 v189, 0                                      // 000000004DFC: 7F7A0280
	v_mov_b32_e32 v190, 0                                      // 000000004E00: 7F7C0280
	v_mov_b32_e32 v191, 0                                      // 000000004E04: 7F7E0280
	v_mov_b32_e32 v192, 0                                      // 000000004E08: 7F800280
	v_mov_b32_e32 v193, 0                                      // 000000004E0C: 7F820280
	v_mov_b32_e32 v194, 0                                      // 000000004E10: 7F840280
	v_mov_b32_e32 v195, 0                                      // 000000004E14: 7F860280
	v_mov_b32_e32 v196, 0                                      // 000000004E18: 7F880280
	v_mov_b32_e32 v197, 0                                      // 000000004E1C: 7F8A0280
	v_mov_b32_e32 v198, 0                                      // 000000004E20: 7F8C0280
	v_mov_b32_e32 v199, 0                                      // 000000004E24: 7F8E0280

0000000000004e28 <label_040A>:
	v_perm_b32 v200, v185, v184, s63                           // 000000004E28: D1ED00C8 00FF71B9
	v_perm_b32 v201, v185, v184, s64                           // 000000004E30: D1ED00C9 010371B9
	v_perm_b32 v202, v187, v186, s63                           // 000000004E38: D1ED00CA 00FF75BB
	v_perm_b32 v203, v187, v186, s64                           // 000000004E40: D1ED00CB 010375BB
	v_perm_b32 v204, v189, v188, s63                           // 000000004E48: D1ED00CC 00FF79BD
	v_perm_b32 v205, v189, v188, s64                           // 000000004E50: D1ED00CD 010379BD
	v_perm_b32 v206, v191, v190, s63                           // 000000004E58: D1ED00CE 00FF7DBF
	v_perm_b32 v207, v191, v190, s64                           // 000000004E60: D1ED00CF 01037DBF
	v_perm_b32 v208, v193, v192, s63                           // 000000004E68: D1ED00D0 00FF81C1
	v_perm_b32 v209, v193, v192, s64                           // 000000004E70: D1ED00D1 010381C1
	v_perm_b32 v210, v195, v194, s63                           // 000000004E78: D1ED00D2 00FF85C3
	v_perm_b32 v211, v195, v194, s64                           // 000000004E80: D1ED00D3 010385C3
	v_perm_b32 v212, v197, v196, s63                           // 000000004E88: D1ED00D4 00FF89C5
	v_perm_b32 v213, v197, v196, s64                           // 000000004E90: D1ED00D5 010389C5
	v_perm_b32 v214, v199, v198, s63                           // 000000004E98: D1ED00D6 00FF8DC7
	v_perm_b32 v215, v199, v198, s64                           // 000000004EA0: D1ED00D7 01038DC7
	ds_write_b32 v15, v200 offset:17408                        // 000000004EA8: D81A4400 0000C80F
	ds_write_b32 v15, v201 offset:18464                        // 000000004EB0: D81A4820 0000C90F
	ds_write_b32 v15, v202 offset:17536                        // 000000004EB8: D81A4480 0000CA0F
	ds_write_b32 v15, v203 offset:18592                        // 000000004EC0: D81A48A0 0000CB0F
	ds_write_b32 v15, v204 offset:21760                        // 000000004EC8: D81A5500 0000CC0F
	ds_write_b32 v15, v205 offset:22816                        // 000000004ED0: D81A5920 0000CD0F
	ds_write_b32 v15, v206 offset:21888                        // 000000004ED8: D81A5580 0000CE0F
	ds_write_b32 v15, v207 offset:22944                        // 000000004EE0: D81A59A0 0000CF0F
	ds_write_b32 v15, v208 offset:26112                        // 000000004EE8: D81A6600 0000D00F
	ds_write_b32 v15, v209 offset:27168                        // 000000004EF0: D81A6A20 0000D10F
	ds_write_b32 v15, v210 offset:26240                        // 000000004EF8: D81A6680 0000D20F
	ds_write_b32 v15, v211 offset:27296                        // 000000004F00: D81A6AA0 0000D30F
	ds_write_b32 v15, v212 offset:30464                        // 000000004F08: D81A7700 0000D40F
	ds_write_b32 v15, v213 offset:31520                        // 000000004F10: D81A7B20 0000D50F
	ds_write_b32 v15, v214 offset:30592                        // 000000004F18: D81A7780 0000D60F
	ds_write_b32 v15, v215 offset:31648                        // 000000004F20: D81A7BA0 0000D70F
	ds_write_b32 v13, v184                                     // 000000004F28: D81A0000 0000B80D
	ds_write_b32 v13, v185 offset:1056                         // 000000004F30: D81A0420 0000B90D
	ds_write_b32 v13, v186 offset:128                          // 000000004F38: D81A0080 0000BA0D
	ds_write_b32 v13, v187 offset:1184                         // 000000004F40: D81A04A0 0000BB0D
	ds_write_b32 v13, v188 offset:4352                         // 000000004F48: D81A1100 0000BC0D
	ds_write_b32 v13, v189 offset:5408                         // 000000004F50: D81A1520 0000BD0D
	ds_write_b32 v13, v190 offset:4480                         // 000000004F58: D81A1180 0000BE0D
	ds_write_b32 v13, v191 offset:5536                         // 000000004F60: D81A15A0 0000BF0D
	ds_write_b32 v13, v192 offset:8704                         // 000000004F68: D81A2200 0000C00D
	ds_write_b32 v13, v193 offset:9760                         // 000000004F70: D81A2620 0000C10D
	ds_write_b32 v13, v194 offset:8832                         // 000000004F78: D81A2280 0000C20D
	ds_write_b32 v13, v195 offset:9888                         // 000000004F80: D81A26A0 0000C30D
	ds_write_b32 v13, v196 offset:13056                        // 000000004F88: D81A3300 0000C40D
	ds_write_b32 v13, v197 offset:14112                        // 000000004F90: D81A3720 0000C50D
	ds_write_b32 v13, v198 offset:13184                        // 000000004F98: D81A3380 0000C60D
	ds_write_b32 v13, v199 offset:14240                        // 000000004FA0: D81A37A0 0000C70D
	buffer_load_dword v184, v1, s[16:19], 0 idxen              // 000000004FA8: E0502000 8004B801
	buffer_load_dword v185, v2, s[16:19], 0 idxen              // 000000004FB0: E0502000 8004B902
	buffer_load_dword v186, v3, s[16:19], 0 idxen              // 000000004FB8: E0502000 8004BA03
	buffer_load_dword v187, v4, s[16:19], 0 idxen              // 000000004FC0: E0502000 8004BB04
	s_mul_i32 s60, 16, s7                                      // 000000004FC8: 923C0790
	s_cmp_lt_i32 2, s73                                        // 000000004FCC: BF044982
	s_cselect_b32 s60, s60, 0                                  // 000000004FD0: 853C803C
	s_add_u32 s16, s60, s16                                    // 000000004FD4: 8010103C
	s_addc_u32 s17, 0, s17                                     // 000000004FD8: 82111180
	buffer_load_dword v188, v1, s[16:19], 0 idxen              // 000000004FDC: E0502000 8004BC01
	buffer_load_dword v189, v2, s[16:19], 0 idxen              // 000000004FE4: E0502000 8004BD02
	buffer_load_dword v190, v3, s[16:19], 0 idxen              // 000000004FEC: E0502000 8004BE03
	buffer_load_dword v191, v4, s[16:19], 0 idxen              // 000000004FF4: E0502000 8004BF04
	s_mul_i32 s60, 16, s7                                      // 000000004FFC: 923C0790
	s_cmp_lt_i32 2, s73                                        // 000000005000: BF044982
	s_cselect_b32 s60, s60, 0                                  // 000000005004: 853C803C
	s_add_u32 s16, s60, s16                                    // 000000005008: 8010103C
	s_addc_u32 s17, 0, s17                                     // 00000000500C: 82111180
	buffer_load_dword v192, v1, s[16:19], 0 idxen              // 000000005010: E0502000 8004C001
	buffer_load_dword v193, v2, s[16:19], 0 idxen              // 000000005018: E0502000 8004C102
	buffer_load_dword v194, v3, s[16:19], 0 idxen              // 000000005020: E0502000 8004C203
	buffer_load_dword v195, v4, s[16:19], 0 idxen              // 000000005028: E0502000 8004C304
	s_mul_i32 s60, 16, s7                                      // 000000005030: 923C0790
	s_cmp_lt_i32 2, s73                                        // 000000005034: BF044982
	s_cselect_b32 s60, s60, 0                                  // 000000005038: 853C803C
	s_add_u32 s16, s60, s16                                    // 00000000503C: 8010103C
	s_addc_u32 s17, 0, s17                                     // 000000005040: 82111180
	buffer_load_dword v196, v1, s[16:19], 0 idxen              // 000000005044: E0502000 8004C401
	buffer_load_dword v197, v2, s[16:19], 0 idxen              // 00000000504C: E0502000 8004C502
	buffer_load_dword v198, v3, s[16:19], 0 idxen              // 000000005054: E0502000 8004C603
	buffer_load_dword v199, v4, s[16:19], 0 idxen              // 00000000505C: E0502000 8004C704
	s_mul_i32 s60, 16, s7                                      // 000000005064: 923C0790
	s_cmp_lt_i32 3, s73                                        // 000000005068: BF044983
	s_cselect_b32 s60, s60, 0                                  // 00000000506C: 853C803C
	s_add_u32 s16, s60, s16                                    // 000000005070: 8010103C
	s_addc_u32 s17, 0, s17                                     // 000000005074: 82111180
	s_waitcnt lgkmcnt(0)                                       // 000000005078: BF8CC07F
	s_barrier                                                  // 00000000507C: BF8A0000
	ds_read_b128 a[80:83], v25 offset:17408                    // 000000005080: DBFE4400 50000019
	ds_read_b128 a[84:87], v25 offset:17664                    // 000000005088: DBFE4500 54000019
	ds_read_b128 a[88:91], v25 offset:26112                    // 000000005090: DBFE6600 58000019
	ds_read_b128 a[92:95], v25 offset:26368                    // 000000005098: DBFE6700 5C000019
	ds_read_b128 a[32:35], v24                                 // 0000000050A0: DBFE0000 20000018
	ds_read_b128 a[36:39], v24 offset:512                      // 0000000050A8: DBFE0200 24000018
	ds_read_b128 a[40:43], v24 offset:2176                     // 0000000050B0: DBFE0880 28000018
	ds_read_b128 a[44:47], v24 offset:2688                     // 0000000050B8: DBFE0A80 2C000018
	s_waitcnt vmcnt(32) lgkmcnt(0)                             // 0000000050C0: BF8C8070
	s_barrier                                                  // 0000000050C4: BF8A0000
	s_cmp_lt_i32 0, s73                                        // 0000000050C8: BF044980
	s_cbranch_scc1 label_04C4                                  // 0000000050CC: BF850010
	v_mov_b32_e32 v152, 0                                      // 0000000050D0: 7F300280
	v_mov_b32_e32 v153, 0                                      // 0000000050D4: 7F320280
	v_mov_b32_e32 v154, 0                                      // 0000000050D8: 7F340280
	v_mov_b32_e32 v155, 0                                      // 0000000050DC: 7F360280
	v_mov_b32_e32 v156, 0                                      // 0000000050E0: 7F380280
	v_mov_b32_e32 v157, 0                                      // 0000000050E4: 7F3A0280
	v_mov_b32_e32 v158, 0                                      // 0000000050E8: 7F3C0280
	v_mov_b32_e32 v159, 0                                      // 0000000050EC: 7F3E0280
	v_mov_b32_e32 v160, 0                                      // 0000000050F0: 7F400280
	v_mov_b32_e32 v161, 0                                      // 0000000050F4: 7F420280
	v_mov_b32_e32 v162, 0                                      // 0000000050F8: 7F440280
	v_mov_b32_e32 v163, 0                                      // 0000000050FC: 7F460280
	v_mov_b32_e32 v164, 0                                      // 000000005100: 7F480280
	v_mov_b32_e32 v165, 0                                      // 000000005104: 7F4A0280
	v_mov_b32_e32 v166, 0                                      // 000000005108: 7F4C0280
	v_mov_b32_e32 v167, 0                                      // 00000000510C: 7F4E0280

0000000000005110 <label_04C4>:
	ds_write_b32 v13, v152                                     // 000000005110: D81A0000 0000980D
	ds_write_b32 v13, v153 offset:1056                         // 000000005118: D81A0420 0000990D
	ds_write_b32 v13, v154 offset:128                          // 000000005120: D81A0080 00009A0D
	ds_write_b32 v13, v155 offset:1184                         // 000000005128: D81A04A0 00009B0D
	ds_write_b32 v13, v156 offset:4352                         // 000000005130: D81A1100 00009C0D
	ds_write_b32 v13, v157 offset:5408                         // 000000005138: D81A1520 00009D0D
	ds_write_b32 v13, v158 offset:4480                         // 000000005140: D81A1180 00009E0D
	ds_write_b32 v13, v159 offset:5536                         // 000000005148: D81A15A0 00009F0D
	ds_write_b32 v13, v160 offset:8704                         // 000000005150: D81A2200 0000A00D
	ds_write_b32 v13, v161 offset:9760                         // 000000005158: D81A2620 0000A10D
	ds_write_b32 v13, v162 offset:8832                         // 000000005160: D81A2280 0000A20D
	ds_write_b32 v13, v163 offset:9888                         // 000000005168: D81A26A0 0000A30D
	ds_write_b32 v13, v164 offset:13056                        // 000000005170: D81A3300 0000A40D
	ds_write_b32 v13, v165 offset:14112                        // 000000005178: D81A3720 0000A50D
	ds_write_b32 v13, v166 offset:13184                        // 000000005180: D81A3380 0000A60D
	ds_write_b32 v13, v167 offset:14240                        // 000000005188: D81A37A0 0000A70D
	s_mov_b32 s71, s70                                         // 000000005190: BEC70046
	v_lshrrev_b32_e32 v28, 4, v0                               // 000000005194: 20380084
	v_and_b32_e32 v29, 1, v28                                  // 000000005198: 263A3881
	v_lshlrev_b32_e32 v29, 1, v29                              // 00000000519C: 243A3A81
	v_mul_i32_i24_e32 v29, s71, v29                            // 0000000051A0: 0C3A3A47
	v_and_b32_e32 v30, 2, v28                                  // 0000000051A4: 263C3882
	v_lshlrev_b32_e32 v30, 5, v30                              // 0000000051A8: 243C3C85
	v_add_u32_e32 v29, v30, v29                                // 0000000051AC: 683A3B1E
	v_and_b32_e32 v28, 15, v0                                  // 0000000051B0: 2638008F
	v_lshlrev_b32_e32 v28, 2, v28                              // 0000000051B4: 24383882
	v_add_u32_e32 v1, v28, v29                                 // 0000000051B8: 68023B1C
	s_and_b32 s60, 1, s47                                      // 0000000051BC: 863C2F81
	s_mul_i32 s60, s60, s71                                    // 0000000051C0: 923C473C
	s_mul_i32 s60, s60, 8                                      // 0000000051C4: 923C883C
	s_lshr_b32 s61, s47, 1                                     // 0000000051C8: 8F3D812F
	s_mul_i32 s61, s61, 0x80                                   // 0000000051CC: 923DFF3D 00000080
	s_add_u32 s60, s60, s61                                    // 0000000051D4: 803C3D3C
	v_add_u32_e32 v1, s60, v1                                  // 0000000051D8: 6802023C
	v_add_u32_e32 v2, s71, v1                                  // 0000000051DC: 68040247
	s_mul_i32 s60, 4, s71                                      // 0000000051E0: 923C4784
	v_add_u32_e32 v3, s60, v1                                  // 0000000051E4: 6806023C
	v_add_u32_e32 v4, s60, v2                                  // 0000000051E8: 6808043C
	v_lshrrev_b32_e32 v1, 2, v1                                // 0000000051EC: 20020282
	v_lshrrev_b32_e32 v2, 2, v2                                // 0000000051F0: 20040482
	v_lshrrev_b32_e32 v3, 2, v3                                // 0000000051F4: 20060682
	v_lshrrev_b32_e32 v4, 2, v4                                // 0000000051F8: 20080882
	buffer_load_dword v32, v1, s[8:11], 0 idxen                // 0000000051FC: E0502000 80022001
	buffer_load_dword v33, v2, s[8:11], 0 idxen                // 000000005204: E0502000 80022102
	buffer_load_dword v34, v3, s[8:11], 0 idxen                // 00000000520C: E0502000 80022203
	buffer_load_dword v35, v4, s[8:11], 0 idxen                // 000000005214: E0502000 80022304
	buffer_load_dword v40, v1, s[20:23], 0 idxen               // 00000000521C: E0502000 80052801
	buffer_load_dword v41, v2, s[20:23], 0 idxen               // 000000005224: E0502000 80052902
	buffer_load_dword v42, v3, s[20:23], 0 idxen               // 00000000522C: E0502000 80052A03
	buffer_load_dword v43, v4, s[20:23], 0 idxen               // 000000005234: E0502000 80052B04
	s_waitcnt lgkmcnt(0)                                       // 00000000523C: BF8CC07F
	s_barrier                                                  // 000000005240: BF8A0000
	ds_read_b128 a[96:99], v24                                 // 000000005244: DBFE0000 60000018
	ds_read_b128 a[100:103], v24 offset:512                    // 00000000524C: DBFE0200 64000018
	ds_read_b128 a[104:107], v24 offset:2176                   // 000000005254: DBFE0880 68000018
	ds_read_b128 a[108:111], v24 offset:2688                   // 00000000525C: DBFE0A80 6C000018
	s_add_u32 s8, s68, s8                                      // 000000005264: 80080844
	s_addc_u32 s9, 0, s9                                       // 000000005268: 82090980
	s_add_u32 s20, s68, s20                                    // 00000000526C: 80141444
	s_addc_u32 s21, 0, s21                                     // 000000005270: 82151580
	s_waitcnt vmcnt(24) lgkmcnt(0)                             // 000000005274: BF8C4078
	s_barrier                                                  // 000000005278: BF8A0000
	s_cmp_lt_i32 1, s73                                        // 00000000527C: BF044981
	s_cbranch_scc1 label_0531                                  // 000000005280: BF850010
	v_mov_b32_e32 v168, 0                                      // 000000005284: 7F500280
	v_mov_b32_e32 v169, 0                                      // 000000005288: 7F520280
	v_mov_b32_e32 v170, 0                                      // 00000000528C: 7F540280
	v_mov_b32_e32 v171, 0                                      // 000000005290: 7F560280
	v_mov_b32_e32 v172, 0                                      // 000000005294: 7F580280
	v_mov_b32_e32 v173, 0                                      // 000000005298: 7F5A0280
	v_mov_b32_e32 v174, 0                                      // 00000000529C: 7F5C0280
	v_mov_b32_e32 v175, 0                                      // 0000000052A0: 7F5E0280
	v_mov_b32_e32 v176, 0                                      // 0000000052A4: 7F600280
	v_mov_b32_e32 v177, 0                                      // 0000000052A8: 7F620280
	v_mov_b32_e32 v178, 0                                      // 0000000052AC: 7F640280
	v_mov_b32_e32 v179, 0                                      // 0000000052B0: 7F660280
	v_mov_b32_e32 v180, 0                                      // 0000000052B4: 7F680280
	v_mov_b32_e32 v181, 0                                      // 0000000052B8: 7F6A0280
	v_mov_b32_e32 v182, 0                                      // 0000000052BC: 7F6C0280
	v_mov_b32_e32 v183, 0                                      // 0000000052C0: 7F6E0280

00000000000052c4 <label_0531>:
	ds_write_b32 v13, v168                                     // 0000000052C4: D81A0000 0000A80D
	ds_write_b32 v13, v169 offset:1056                         // 0000000052CC: D81A0420 0000A90D
	ds_write_b32 v13, v170 offset:128                          // 0000000052D4: D81A0080 0000AA0D
	ds_write_b32 v13, v171 offset:1184                         // 0000000052DC: D81A04A0 0000AB0D
	ds_write_b32 v13, v172 offset:4352                         // 0000000052E4: D81A1100 0000AC0D
	ds_write_b32 v13, v173 offset:5408                         // 0000000052EC: D81A1520 0000AD0D
	ds_write_b32 v13, v174 offset:4480                         // 0000000052F4: D81A1180 0000AE0D
	ds_write_b32 v13, v175 offset:5536                         // 0000000052FC: D81A15A0 0000AF0D
	ds_write_b32 v13, v176 offset:8704                         // 000000005304: D81A2200 0000B00D
	ds_write_b32 v13, v177 offset:9760                         // 00000000530C: D81A2620 0000B10D
	ds_write_b32 v13, v178 offset:8832                         // 000000005314: D81A2280 0000B20D
	ds_write_b32 v13, v179 offset:9888                         // 00000000531C: D81A26A0 0000B30D
	ds_write_b32 v13, v180 offset:13056                        // 000000005324: D81A3300 0000B40D
	ds_write_b32 v13, v181 offset:14112                        // 00000000532C: D81A3720 0000B50D
	ds_write_b32 v13, v182 offset:13184                        // 000000005334: D81A3380 0000B60D
	ds_write_b32 v13, v183 offset:14240                        // 00000000533C: D81A37A0 0000B70D
	buffer_load_dword v36, v1, s[8:11], 0 idxen                // 000000005344: E0502000 80022401
	buffer_load_dword v37, v2, s[8:11], 0 idxen                // 00000000534C: E0502000 80022502
	buffer_load_dword v38, v3, s[8:11], 0 idxen                // 000000005354: E0502000 80022603
	buffer_load_dword v39, v4, s[8:11], 0 idxen                // 00000000535C: E0502000 80022704
	buffer_load_dword v44, v1, s[20:23], 0 idxen               // 000000005364: E0502000 80052C01
	buffer_load_dword v45, v2, s[20:23], 0 idxen               // 00000000536C: E0502000 80052D02
	buffer_load_dword v46, v3, s[20:23], 0 idxen               // 000000005374: E0502000 80052E03
	buffer_load_dword v47, v4, s[20:23], 0 idxen               // 00000000537C: E0502000 80052F04
	s_waitcnt lgkmcnt(0)                                       // 000000005384: BF8CC07F
	s_barrier                                                  // 000000005388: BF8A0000
	ds_read_b128 a[112:115], v24                               // 00000000538C: DBFE0000 70000018
	ds_read_b128 a[116:119], v24 offset:512                    // 000000005394: DBFE0200 74000018
	ds_read_b128 a[120:123], v24 offset:2176                   // 00000000539C: DBFE0880 78000018
	ds_read_b128 a[124:127], v24 offset:2688                   // 0000000053A4: DBFE0A80 7C000018
	s_add_u32 s8, s68, s8                                      // 0000000053AC: 80080844
	s_addc_u32 s9, 0, s9                                       // 0000000053B0: 82090980
	s_add_u32 s20, s68, s20                                    // 0000000053B4: 80141444
	s_addc_u32 s21, 0, s21                                     // 0000000053B8: 82151580
	s_waitcnt vmcnt(16) lgkmcnt(0)                             // 0000000053BC: BF8C4070
	s_barrier                                                  // 0000000053C0: BF8A0000
	s_cmp_lt_i32 2, s73                                        // 0000000053C4: BF044982
	s_cbranch_scc1 label_0583                                  // 0000000053C8: BF850010
	v_mov_b32_e32 v184, 0                                      // 0000000053CC: 7F700280
	v_mov_b32_e32 v185, 0                                      // 0000000053D0: 7F720280
	v_mov_b32_e32 v186, 0                                      // 0000000053D4: 7F740280
	v_mov_b32_e32 v187, 0                                      // 0000000053D8: 7F760280
	v_mov_b32_e32 v188, 0                                      // 0000000053DC: 7F780280
	v_mov_b32_e32 v189, 0                                      // 0000000053E0: 7F7A0280
	v_mov_b32_e32 v190, 0                                      // 0000000053E4: 7F7C0280
	v_mov_b32_e32 v191, 0                                      // 0000000053E8: 7F7E0280
	v_mov_b32_e32 v192, 0                                      // 0000000053EC: 7F800280
	v_mov_b32_e32 v193, 0                                      // 0000000053F0: 7F820280
	v_mov_b32_e32 v194, 0                                      // 0000000053F4: 7F840280
	v_mov_b32_e32 v195, 0                                      // 0000000053F8: 7F860280
	v_mov_b32_e32 v196, 0                                      // 0000000053FC: 7F880280
	v_mov_b32_e32 v197, 0                                      // 000000005400: 7F8A0280
	v_mov_b32_e32 v198, 0                                      // 000000005404: 7F8C0280
	v_mov_b32_e32 v199, 0                                      // 000000005408: 7F8E0280

000000000000540c <label_0583>:
	ds_write_b32 v13, v184                                     // 00000000540C: D81A0000 0000B80D
	ds_write_b32 v13, v185 offset:1056                         // 000000005414: D81A0420 0000B90D
	ds_write_b32 v13, v186 offset:128                          // 00000000541C: D81A0080 0000BA0D
	ds_write_b32 v13, v187 offset:1184                         // 000000005424: D81A04A0 0000BB0D
	ds_write_b32 v13, v188 offset:4352                         // 00000000542C: D81A1100 0000BC0D
	ds_write_b32 v13, v189 offset:5408                         // 000000005434: D81A1520 0000BD0D
	ds_write_b32 v13, v190 offset:4480                         // 00000000543C: D81A1180 0000BE0D
	ds_write_b32 v13, v191 offset:5536                         // 000000005444: D81A15A0 0000BF0D
	ds_write_b32 v13, v192 offset:8704                         // 00000000544C: D81A2200 0000C00D
	ds_write_b32 v13, v193 offset:9760                         // 000000005454: D81A2620 0000C10D
	ds_write_b32 v13, v194 offset:8832                         // 00000000545C: D81A2280 0000C20D
	ds_write_b32 v13, v195 offset:9888                         // 000000005464: D81A26A0 0000C30D
	ds_write_b32 v13, v196 offset:13056                        // 00000000546C: D81A3300 0000C40D
	ds_write_b32 v13, v197 offset:14112                        // 000000005474: D81A3720 0000C50D
	ds_write_b32 v13, v198 offset:13184                        // 00000000547C: D81A3380 0000C60D
	ds_write_b32 v13, v199 offset:14240                        // 000000005484: D81A37A0 0000C70D
	s_waitcnt lgkmcnt(0)                                       // 00000000548C: BF8CC07F
	s_barrier                                                  // 000000005490: BF8A0000
	ds_read_b128 a[128:131], v24                               // 000000005494: DBFE0000 80000018
	ds_read_b128 a[132:135], v24 offset:512                    // 00000000549C: DBFE0200 84000018
	ds_read_b128 a[136:139], v24 offset:2176                   // 0000000054A4: DBFE0880 88000018
	ds_read_b128 a[140:143], v24 offset:2688                   // 0000000054AC: DBFE0A80 8C000018
	s_waitcnt vmcnt(8) lgkmcnt(0)                              // 0000000054B4: BF8C0078
	s_barrier                                                  // 0000000054B8: BF8A0000
	buffer_load_dword v11, s[24:27], 0 idxen lds               // 0000000054BC: E0512000 8006000B
	s_mov_b32 m0, s77                                          // 0000000054C4: BEFC004D
	v_add_u32_e32 v11, s69, v11                                // 0000000054C8: 68161645
	v_perm_b32 v84, v33, v32, s63                              // 0000000054CC: D1ED0054 00FE4121
	v_perm_b32 v85, v33, v32, s64                              // 0000000054D4: D1ED0055 01024121
	v_perm_b32 v86, v35, v34, s63                              // 0000000054DC: D1ED0056 00FE4523
	v_perm_b32 v87, v35, v34, s64                              // 0000000054E4: D1ED0057 01024523
	ds_write_b32 v15, v84 offset:4352                          // 0000000054EC: D81A1100 0000540F
	ds_write_b32 v15, v85 offset:5408                          // 0000000054F4: D81A1520 0000550F
	ds_write_b32 v15, v86 offset:4480                          // 0000000054FC: D81A1180 0000560F
	ds_write_b32 v15, v87 offset:5536                          // 000000005504: D81A15A0 0000570F
	ds_write_b32 v13, v32                                      // 00000000550C: D81A0000 0000200D
	ds_write_b32 v13, v33 offset:1056                          // 000000005514: D81A0420 0000210D
	ds_write_b32 v13, v34 offset:128                           // 00000000551C: D81A0080 0000220D
	ds_write_b32 v13, v35 offset:1184                          // 000000005524: D81A04A0 0000230D
	buffer_load_dword v11, s[24:27], 0 idxen lds               // 00000000552C: E0512000 8006000B
	s_mov_b32 m0, s76                                          // 000000005534: BEFC004C
	v_add_u32_e32 v11, s69, v11                                // 000000005538: 68161645
	v_perm_b32 v88, v41, v40, s63                              // 00000000553C: D1ED0058 00FE5129
	v_perm_b32 v89, v41, v40, s64                              // 000000005544: D1ED0059 01025129
	v_perm_b32 v90, v43, v42, s63                              // 00000000554C: D1ED005A 00FE552B
	v_perm_b32 v91, v43, v42, s64                              // 000000005554: D1ED005B 0102552B
	ds_write_b32 v15, v88 offset:13056                         // 00000000555C: D81A3300 0000580F
	ds_write_b32 v15, v89 offset:14112                         // 000000005564: D81A3720 0000590F
	ds_write_b32 v15, v90 offset:13184                         // 00000000556C: D81A3380 00005A0F
	ds_write_b32 v15, v91 offset:14240                         // 000000005574: D81A37A0 00005B0F
	ds_write_b32 v13, v40 offset:8704                          // 00000000557C: D81A2200 0000280D
	ds_write_b32 v13, v41 offset:9760                          // 000000005584: D81A2620 0000290D
	ds_write_b32 v13, v42 offset:8832                          // 00000000558C: D81A2280 00002A0D
	ds_write_b32 v13, v43 offset:9888                          // 000000005594: D81A26A0 00002B0D
	s_waitcnt vmcnt(1) lgkmcnt(0)                              // 00000000559C: BF8C0071
	s_barrier                                                  // 0000000055A0: BF8A0000
	ds_read_b128 a[144:147], v12                               // 0000000055A4: DBFE0000 9000000C
	ds_read_b128 a[148:151], v12 offset:512                    // 0000000055AC: DBFE0200 9400000C
	ds_read_b128 a[152:155], v12 offset:2176                   // 0000000055B4: DBFE0880 9800000C
	ds_read_b128 a[156:159], v12 offset:2688                   // 0000000055BC: DBFE0A80 9C00000C
	ds_read_b128 v[92:95], v12 offset:8704                     // 0000000055C4: D9FE2200 5C00000C
	ds_read_b128 v[96:99], v12 offset:9216                     // 0000000055CC: D9FE2400 6000000C
	ds_read_b128 v[100:103], v12 offset:10880                  // 0000000055D4: D9FE2A80 6400000C
	ds_read_b128 v[104:107], v12 offset:11392                  // 0000000055DC: D9FE2C80 6800000C
	ds_read_b32 v124, v23 offset:50688                         // 0000000055E4: D86CC600 7C000017
	ds_read_b32 v150, v23 offset:50944                         // 0000000055EC: D86CC700 96000017
	v_accvgpr_write_b32 a160, 0                                // 0000000055F4: D3D940A0 18000080
	v_mov_b32_e32 v152, 0                                      // 0000000055FC: 7F300280
	v_accvgpr_write_b32 a161, 0                                // 000000005600: D3D940A1 18000080
	v_mov_b32_e32 v153, 0                                      // 000000005608: 7F320280
	v_accvgpr_write_b32 a162, 0                                // 00000000560C: D3D940A2 18000080
	v_mov_b32_e32 v154, 0                                      // 000000005614: 7F340280
	v_accvgpr_write_b32 a163, 0                                // 000000005618: D3D940A3 18000080
	v_mov_b32_e32 v155, 0                                      // 000000005620: 7F360280
	v_accvgpr_write_b32 a164, 0                                // 000000005624: D3D940A4 18000080
	v_mov_b32_e32 v156, 0                                      // 00000000562C: 7F380280
	v_accvgpr_write_b32 a165, 0                                // 000000005630: D3D940A5 18000080
	v_mov_b32_e32 v157, 0                                      // 000000005638: 7F3A0280
	v_accvgpr_write_b32 a166, 0                                // 00000000563C: D3D940A6 18000080
	v_mov_b32_e32 v158, 0                                      // 000000005644: 7F3C0280
	v_accvgpr_write_b32 a167, 0                                // 000000005648: D3D940A7 18000080
	v_mov_b32_e32 v159, 0                                      // 000000005650: 7F3E0280
	v_accvgpr_write_b32 a168, 0                                // 000000005654: D3D940A8 18000080
	v_mov_b32_e32 v160, 0                                      // 00000000565C: 7F400280
	v_accvgpr_write_b32 a169, 0                                // 000000005660: D3D940A9 18000080
	v_mov_b32_e32 v161, 0                                      // 000000005668: 7F420280
	v_accvgpr_write_b32 a170, 0                                // 00000000566C: D3D940AA 18000080
	v_mov_b32_e32 v162, 0                                      // 000000005674: 7F440280
	v_accvgpr_write_b32 a171, 0                                // 000000005678: D3D940AB 18000080
	v_mov_b32_e32 v163, 0                                      // 000000005680: 7F460280
	v_accvgpr_write_b32 a172, 0                                // 000000005684: D3D940AC 18000080
	v_mov_b32_e32 v164, 0                                      // 00000000568C: 7F480280
	v_accvgpr_write_b32 a173, 0                                // 000000005690: D3D940AD 18000080
	v_mov_b32_e32 v165, 0                                      // 000000005698: 7F4A0280
	v_accvgpr_write_b32 a174, 0                                // 00000000569C: D3D940AE 18000080
	v_mov_b32_e32 v166, 0                                      // 0000000056A4: 7F4C0280
	v_accvgpr_write_b32 a175, 0                                // 0000000056A8: D3D940AF 18000080
	v_mov_b32_e32 v167, 0                                      // 0000000056B0: 7F4E0280
	v_accvgpr_write_b32 a176, 0                                // 0000000056B4: D3D940B0 18000080
	v_mov_b32_e32 v168, 0                                      // 0000000056BC: 7F500280
	v_accvgpr_write_b32 a177, 0                                // 0000000056C0: D3D940B1 18000080
	v_mov_b32_e32 v169, 0                                      // 0000000056C8: 7F520280
	v_accvgpr_write_b32 a178, 0                                // 0000000056CC: D3D940B2 18000080
	v_mov_b32_e32 v170, 0                                      // 0000000056D4: 7F540280
	v_accvgpr_write_b32 a179, 0                                // 0000000056D8: D3D940B3 18000080
	v_mov_b32_e32 v171, 0                                      // 0000000056E0: 7F560280
	v_accvgpr_write_b32 a180, 0                                // 0000000056E4: D3D940B4 18000080
	v_mov_b32_e32 v172, 0                                      // 0000000056EC: 7F580280
	v_accvgpr_write_b32 a181, 0                                // 0000000056F0: D3D940B5 18000080
	v_mov_b32_e32 v173, 0                                      // 0000000056F8: 7F5A0280
	v_accvgpr_write_b32 a182, 0                                // 0000000056FC: D3D940B6 18000080
	v_mov_b32_e32 v174, 0                                      // 000000005704: 7F5C0280
	v_accvgpr_write_b32 a183, 0                                // 000000005708: D3D940B7 18000080
	v_mov_b32_e32 v175, 0                                      // 000000005710: 7F5E0280
	v_accvgpr_write_b32 a184, 0                                // 000000005714: D3D940B8 18000080
	v_mov_b32_e32 v176, 0                                      // 00000000571C: 7F600280
	v_accvgpr_write_b32 a185, 0                                // 000000005720: D3D940B9 18000080
	v_mov_b32_e32 v177, 0                                      // 000000005728: 7F620280
	v_accvgpr_write_b32 a186, 0                                // 00000000572C: D3D940BA 18000080
	v_mov_b32_e32 v178, 0                                      // 000000005734: 7F640280
	v_accvgpr_write_b32 a187, 0                                // 000000005738: D3D940BB 18000080
	v_mov_b32_e32 v179, 0                                      // 000000005740: 7F660280
	v_accvgpr_write_b32 a188, 0                                // 000000005744: D3D940BC 18000080
	v_mov_b32_e32 v180, 0                                      // 00000000574C: 7F680280
	v_accvgpr_write_b32 a189, 0                                // 000000005750: D3D940BD 18000080
	v_mov_b32_e32 v181, 0                                      // 000000005758: 7F6A0280
	v_accvgpr_write_b32 a190, 0                                // 00000000575C: D3D940BE 18000080
	v_mov_b32_e32 v182, 0                                      // 000000005764: 7F6C0280
	v_accvgpr_write_b32 a191, 0                                // 000000005768: D3D940BF 18000080
	v_mov_b32_e32 v183, 0                                      // 000000005770: 7F6E0280
	v_accvgpr_write_b32 a192, 0                                // 000000005774: D3D940C0 18000080
	v_mov_b32_e32 v184, 0                                      // 00000000577C: 7F700280
	v_accvgpr_write_b32 a193, 0                                // 000000005780: D3D940C1 18000080
	v_mov_b32_e32 v185, 0                                      // 000000005788: 7F720280
	v_accvgpr_write_b32 a194, 0                                // 00000000578C: D3D940C2 18000080
	v_mov_b32_e32 v186, 0                                      // 000000005794: 7F740280
	v_accvgpr_write_b32 a195, 0                                // 000000005798: D3D940C3 18000080
	v_mov_b32_e32 v187, 0                                      // 0000000057A0: 7F760280
	v_accvgpr_write_b32 a196, 0                                // 0000000057A4: D3D940C4 18000080
	v_mov_b32_e32 v188, 0                                      // 0000000057AC: 7F780280
	v_accvgpr_write_b32 a197, 0                                // 0000000057B0: D3D940C5 18000080
	v_mov_b32_e32 v189, 0                                      // 0000000057B8: 7F7A0280
	v_accvgpr_write_b32 a198, 0                                // 0000000057BC: D3D940C6 18000080
	v_mov_b32_e32 v190, 0                                      // 0000000057C4: 7F7C0280
	v_accvgpr_write_b32 a199, 0                                // 0000000057C8: D3D940C7 18000080
	v_mov_b32_e32 v191, 0                                      // 0000000057D0: 7F7E0280
	v_accvgpr_write_b32 a200, 0                                // 0000000057D4: D3D940C8 18000080
	v_mov_b32_e32 v192, 0                                      // 0000000057DC: 7F800280
	v_accvgpr_write_b32 a201, 0                                // 0000000057E0: D3D940C9 18000080
	v_mov_b32_e32 v193, 0                                      // 0000000057E8: 7F820280
	v_accvgpr_write_b32 a202, 0                                // 0000000057EC: D3D940CA 18000080
	v_mov_b32_e32 v194, 0                                      // 0000000057F4: 7F840280
	v_accvgpr_write_b32 a203, 0                                // 0000000057F8: D3D940CB 18000080
	v_mov_b32_e32 v195, 0                                      // 000000005800: 7F860280
	v_accvgpr_write_b32 a204, 0                                // 000000005804: D3D940CC 18000080
	v_mov_b32_e32 v196, 0                                      // 00000000580C: 7F880280
	v_accvgpr_write_b32 a205, 0                                // 000000005810: D3D940CD 18000080
	v_mov_b32_e32 v197, 0                                      // 000000005818: 7F8A0280
	v_accvgpr_write_b32 a206, 0                                // 00000000581C: D3D940CE 18000080
	v_mov_b32_e32 v198, 0                                      // 000000005824: 7F8C0280
	v_accvgpr_write_b32 a207, 0                                // 000000005828: D3D940CF 18000080
	v_mov_b32_e32 v199, 0                                      // 000000005830: 7F8E0280
	v_accvgpr_write_b32 a208, 0                                // 000000005834: D3D940D0 18000080
	v_mov_b32_e32 v200, 0                                      // 00000000583C: 7F900280
	v_accvgpr_write_b32 a209, 0                                // 000000005840: D3D940D1 18000080
	v_mov_b32_e32 v201, 0                                      // 000000005848: 7F920280
	v_accvgpr_write_b32 a210, 0                                // 00000000584C: D3D940D2 18000080
	v_mov_b32_e32 v202, 0                                      // 000000005854: 7F940280
	v_accvgpr_write_b32 a211, 0                                // 000000005858: D3D940D3 18000080
	v_mov_b32_e32 v203, 0                                      // 000000005860: 7F960280
	v_accvgpr_write_b32 a212, 0                                // 000000005864: D3D940D4 18000080
	v_mov_b32_e32 v204, 0                                      // 00000000586C: 7F980280
	v_accvgpr_write_b32 a213, 0                                // 000000005870: D3D940D5 18000080
	v_mov_b32_e32 v205, 0                                      // 000000005878: 7F9A0280
	v_accvgpr_write_b32 a214, 0                                // 00000000587C: D3D940D6 18000080
	v_mov_b32_e32 v206, 0                                      // 000000005884: 7F9C0280
	v_accvgpr_write_b32 a215, 0                                // 000000005888: D3D940D7 18000080
	v_mov_b32_e32 v207, 0                                      // 000000005890: 7F9E0280
	v_accvgpr_write_b32 a216, 0                                // 000000005894: D3D940D8 18000080
	v_mov_b32_e32 v208, 0                                      // 00000000589C: 7FA00280
	v_accvgpr_write_b32 a217, 0                                // 0000000058A0: D3D940D9 18000080
	v_mov_b32_e32 v209, 0                                      // 0000000058A8: 7FA20280
	v_accvgpr_write_b32 a218, 0                                // 0000000058AC: D3D940DA 18000080
	v_mov_b32_e32 v210, 0                                      // 0000000058B4: 7FA40280
	v_accvgpr_write_b32 a219, 0                                // 0000000058B8: D3D940DB 18000080
	v_mov_b32_e32 v211, 0                                      // 0000000058C0: 7FA60280
	v_accvgpr_write_b32 a220, 0                                // 0000000058C4: D3D940DC 18000080
	v_mov_b32_e32 v212, 0                                      // 0000000058CC: 7FA80280
	v_accvgpr_write_b32 a221, 0                                // 0000000058D0: D3D940DD 18000080
	v_mov_b32_e32 v213, 0                                      // 0000000058D8: 7FAA0280
	v_accvgpr_write_b32 a222, 0                                // 0000000058DC: D3D940DE 18000080
	v_mov_b32_e32 v214, 0                                      // 0000000058E4: 7FAC0280
	v_accvgpr_write_b32 a223, 0                                // 0000000058E8: D3D940DF 18000080
	v_mov_b32_e32 v215, 0                                      // 0000000058F0: 7FAE0280
	v_accvgpr_write_b32 a224, 0                                // 0000000058F4: D3D940E0 18000080
	v_mov_b32_e32 v216, 0                                      // 0000000058FC: 7FB00280
	v_accvgpr_write_b32 a225, 0                                // 000000005900: D3D940E1 18000080
	v_mov_b32_e32 v217, 0                                      // 000000005908: 7FB20280
	v_accvgpr_write_b32 a226, 0                                // 00000000590C: D3D940E2 18000080
	v_mov_b32_e32 v218, 0                                      // 000000005914: 7FB40280
	v_accvgpr_write_b32 a227, 0                                // 000000005918: D3D940E3 18000080
	v_mov_b32_e32 v219, 0                                      // 000000005920: 7FB60280
	v_accvgpr_write_b32 a228, 0                                // 000000005924: D3D940E4 18000080
	v_mov_b32_e32 v220, 0                                      // 00000000592C: 7FB80280
	v_accvgpr_write_b32 a229, 0                                // 000000005930: D3D940E5 18000080
	v_mov_b32_e32 v221, 0                                      // 000000005938: 7FBA0280
	v_accvgpr_write_b32 a230, 0                                // 00000000593C: D3D940E6 18000080
	v_mov_b32_e32 v222, 0                                      // 000000005944: 7FBC0280
	v_accvgpr_write_b32 a231, 0                                // 000000005948: D3D940E7 18000080
	v_mov_b32_e32 v223, 0                                      // 000000005950: 7FBE0280
	v_accvgpr_write_b32 a232, 0                                // 000000005954: D3D940E8 18000080
	v_mov_b32_e32 v224, 0                                      // 00000000595C: 7FC00280
	v_accvgpr_write_b32 a233, 0                                // 000000005960: D3D940E9 18000080
	v_mov_b32_e32 v225, 0                                      // 000000005968: 7FC20280
	v_accvgpr_write_b32 a234, 0                                // 00000000596C: D3D940EA 18000080
	v_mov_b32_e32 v226, 0                                      // 000000005974: 7FC40280
	v_accvgpr_write_b32 a235, 0                                // 000000005978: D3D940EB 18000080
	v_mov_b32_e32 v227, 0                                      // 000000005980: 7FC60280
	v_accvgpr_write_b32 a236, 0                                // 000000005984: D3D940EC 18000080
	v_mov_b32_e32 v228, 0                                      // 00000000598C: 7FC80280
	v_accvgpr_write_b32 a237, 0                                // 000000005990: D3D940ED 18000080
	v_mov_b32_e32 v229, 0                                      // 000000005998: 7FCA0280
	v_accvgpr_write_b32 a238, 0                                // 00000000599C: D3D940EE 18000080
	v_mov_b32_e32 v230, 0                                      // 0000000059A4: 7FCC0280
	v_accvgpr_write_b32 a239, 0                                // 0000000059A8: D3D940EF 18000080
	v_mov_b32_e32 v231, 0                                      // 0000000059B0: 7FCE0280
	v_accvgpr_write_b32 a240, 0                                // 0000000059B4: D3D940F0 18000080
	v_mov_b32_e32 v232, 0                                      // 0000000059BC: 7FD00280
	v_accvgpr_write_b32 a241, 0                                // 0000000059C0: D3D940F1 18000080
	v_mov_b32_e32 v233, 0                                      // 0000000059C8: 7FD20280
	v_accvgpr_write_b32 a242, 0                                // 0000000059CC: D3D940F2 18000080
	v_mov_b32_e32 v234, 0                                      // 0000000059D4: 7FD40280
	v_accvgpr_write_b32 a243, 0                                // 0000000059D8: D3D940F3 18000080
	v_mov_b32_e32 v235, 0                                      // 0000000059E0: 7FD60280
	v_accvgpr_write_b32 a244, 0                                // 0000000059E4: D3D940F4 18000080
	v_mov_b32_e32 v236, 0                                      // 0000000059EC: 7FD80280
	v_accvgpr_write_b32 a245, 0                                // 0000000059F0: D3D940F5 18000080
	v_mov_b32_e32 v237, 0                                      // 0000000059F8: 7FDA0280
	v_accvgpr_write_b32 a246, 0                                // 0000000059FC: D3D940F6 18000080
	v_mov_b32_e32 v238, 0                                      // 000000005A04: 7FDC0280
	v_accvgpr_write_b32 a247, 0                                // 000000005A08: D3D940F7 18000080
	v_mov_b32_e32 v239, 0                                      // 000000005A10: 7FDE0280
	v_accvgpr_write_b32 a248, 0                                // 000000005A14: D3D940F8 18000080
	v_mov_b32_e32 v240, 0                                      // 000000005A1C: 7FE00280
	v_accvgpr_write_b32 a249, 0                                // 000000005A20: D3D940F9 18000080
	v_mov_b32_e32 v241, 0                                      // 000000005A28: 7FE20280
	v_accvgpr_write_b32 a250, 0                                // 000000005A2C: D3D940FA 18000080
	v_mov_b32_e32 v242, 0                                      // 000000005A34: 7FE40280
	v_accvgpr_write_b32 a251, 0                                // 000000005A38: D3D940FB 18000080
	v_mov_b32_e32 v243, 0                                      // 000000005A40: 7FE60280
	v_accvgpr_write_b32 a252, 0                                // 000000005A44: D3D940FC 18000080
	v_mov_b32_e32 v244, 0                                      // 000000005A4C: 7FE80280
	v_accvgpr_write_b32 a253, 0                                // 000000005A50: D3D940FD 18000080
	v_mov_b32_e32 v245, 0                                      // 000000005A58: 7FEA0280
	v_accvgpr_write_b32 a254, 0                                // 000000005A5C: D3D940FE 18000080
	v_mov_b32_e32 v246, 0                                      // 000000005A64: 7FEC0280
	v_accvgpr_write_b32 a255, 0                                // 000000005A68: D3D940FF 18000080
	v_mov_b32_e32 v247, 0                                      // 000000005A70: 7FEE0280
	v_mov_b32_e32 v136, 0                                      // 000000005A74: 7F100280
	v_mov_b32_e32 v137, 0                                      // 000000005A78: 7F120280
	v_mov_b32_e32 v138, 0                                      // 000000005A7C: 7F140280
	v_mov_b32_e32 v139, 0                                      // 000000005A80: 7F160280
	v_mov_b32_e32 v140, 0                                      // 000000005A84: 7F180280
	v_mov_b32_e32 v141, 0                                      // 000000005A88: 7F1A0280
	v_mov_b32_e32 v142, 0                                      // 000000005A8C: 7F1C0280
	v_mov_b32_e32 v143, 0                                      // 000000005A90: 7F1E0280
	v_mov_b32_e32 v128, 0                                      // 000000005A94: 7F000280
	v_mov_b32_e32 v129, 0                                      // 000000005A98: 7F020280
	v_mov_b32_e32 v130, 0                                      // 000000005A9C: 7F040280
	v_mov_b32_e32 v131, 0                                      // 000000005AA0: 7F060280
	v_mov_b32_e32 v132, 0                                      // 000000005AA4: 7F080280
	v_mov_b32_e32 v133, 0                                      // 000000005AA8: 7F0A0280
	v_mov_b32_e32 v134, 0                                      // 000000005AAC: 7F0C0280
	v_mov_b32_e32 v135, 0                                      // 000000005AB0: 7F0E0280
	s_waitcnt lgkmcnt(0)                                       // 000000005AB4: BF8CC07F
	s_barrier                                                  // 000000005AB8: BF8A0000
	buffer_load_dword v32, v1, s[8:11], 0 idxen                // 000000005ABC: E0502000 80022001
	buffer_load_dword v33, v2, s[8:11], 0 idxen                // 000000005AC4: E0502000 80022102
	buffer_load_dword v34, v3, s[8:11], 0 idxen                // 000000005ACC: E0502000 80022203
	buffer_load_dword v35, v4, s[8:11], 0 idxen                // 000000005AD4: E0502000 80022304
	buffer_load_dword v40, v1, s[20:23], 0 idxen               // 000000005ADC: E0502000 80052801
	buffer_load_dword v41, v2, s[20:23], 0 idxen               // 000000005AE4: E0502000 80052902
	buffer_load_dword v42, v3, s[20:23], 0 idxen               // 000000005AEC: E0502000 80052A03
	buffer_load_dword v43, v4, s[20:23], 0 idxen               // 000000005AF4: E0502000 80052B04
	buffer_load_dword v11, s[24:27], 0 idxen lds               // 000000005AFC: E0512000 8006000B
	s_mov_b32 m0, s77                                          // 000000005B04: BEFC004D
	v_add_u32_e32 v11, s69, v11                                // 000000005B08: 68161645
	s_add_u32 s8, s68, s8                                      // 000000005B0C: 80080844
	s_addc_u32 s9, 0, s9                                       // 000000005B10: 82090980
	s_add_u32 s20, s68, s20                                    // 000000005B14: 80141444
	s_addc_u32 s21, 0, s21                                     // 000000005B18: 82151580
	v_mul_f32_e32 v124, s49, v124                              // 000000005B1C: 0AF8F831
	v_perm_b32 v84, v37, v36, s63                              // 000000005B20: D1ED0054 00FE4925
	v_perm_b32 v85, v37, v36, s64                              // 000000005B28: D1ED0055 01024925
	v_perm_b32 v86, v39, v38, s63                              // 000000005B30: D1ED0056 00FE4D27
	v_perm_b32 v87, v39, v38, s64                              // 000000005B38: D1ED0057 01024D27
	v_perm_b32 v88, v45, v44, s63                              // 000000005B40: D1ED0058 00FE592D
	v_perm_b32 v89, v45, v44, s64                              // 000000005B48: D1ED0059 0102592D
	v_perm_b32 v90, v47, v46, s63                              // 000000005B50: D1ED005A 00FE5D2F
	v_perm_b32 v91, v47, v46, s64                              // 000000005B58: D1ED005B 01025D2F
	v_mov_b32_dpp v127, v124 quad_perm:[3,3,3,3] row_mask:0xf bank_mask:0xf// 000000005B60: 7EFE02FA FF00FF7C
	v_mov_b32_dpp v126, v124 quad_perm:[2,2,2,2] row_mask:0xf bank_mask:0xf// 000000005B68: 7EFC02FA FF00AA7C
	v_mov_b32_dpp v125, v124 quad_perm:[1,1,1,1] row_mask:0xf bank_mask:0xf// 000000005B70: 7EFA02FA FF00557C
	v_mov_b32_dpp v124, v124 quad_perm:[0,0,0,0] row_mask:0xf bank_mask:0xf// 000000005B78: 7EF802FA FF00007C
	s_waitcnt vmcnt(9)                                         // 000000005B80: BF8C0F79
	s_barrier                                                  // 000000005B84: BF8A0000
	s_cmp_lt_i32 s47, 2                                        // 000000005B88: BF04822F
	s_cbranch_scc0 label_0D75                                  // 000000005B8C: BF840611
	s_nop 0                                                    // 000000005B90: BF800000
	s_nop 0                                                    // 000000005B94: BF800000
	s_nop 0                                                    // 000000005B98: BF800000

0000000000005b9c <label_0767>:
	s_waitcnt lgkmcnt(4)                                       // 000000005B9C: BF8CC47F
	s_barrier                                                  // 000000005BA0: BF8A0000
	v_mfma_f32_16x16x16_bf16 v[48:51], a[144:145], a[0:1], 0   // 000000005BA4: D3E10030 1A020190
	ds_write_b32 v13, v44 offset:8704                          // 000000005BAC: D81A2200 00002C0D
	ds_write_b32 v13, v45 offset:9760                          // 000000005BB4: D81A2620 00002D0D
	v_mfma_f32_16x16x16_bf16 v[48:51], a[146:147], a[2:3], v[48:51]// 000000005BBC: D3E10030 1CC20592
	v_mul_f32_e32 v128, s48, v128                              // 000000005BC4: 0B010030
	v_mul_f32_e32 v129, s48, v129                              // 000000005BC8: 0B030230
	v_mfma_f32_16x16x16_bf16 v[48:51], a[148:149], a[4:5], v[48:51]// 000000005BCC: D3E10030 1CC20994
	ds_write_b32 v13, v46 offset:8832                          // 000000005BD4: D81A2280 00002E0D
	ds_write_b32 v13, v47 offset:9888                          // 000000005BDC: D81A26A0 00002F0D
	v_mfma_f32_16x16x16_bf16 v[48:51], a[150:151], a[6:7], v[48:51]// 000000005BE4: D3E10030 1CC20D96
	v_mul_f32_e32 v130, s48, v130                              // 000000005BEC: 0B050430
	v_mul_f32_e32 v131, s48, v131                              // 000000005BF0: 0B070630
	v_mfma_f32_16x16x16_bf16 v[48:51], a[152:153], a[8:9], v[48:51]// 000000005BF4: D3E10030 1CC21198
	v_mul_f32_e32 v132, s48, v132                              // 000000005BFC: 0B090830
	v_mul_f32_e32 v133, s48, v133                              // 000000005C00: 0B0B0A30
	v_mfma_f32_16x16x16_bf16 v[48:51], a[154:155], a[10:11], v[48:51]// 000000005C04: D3E10030 1CC2159A
	v_mul_f32_e32 v134, s48, v134                              // 000000005C0C: 0B0D0C30
	v_mul_f32_e32 v135, s48, v135                              // 000000005C10: 0B0F0E30
	v_mfma_f32_16x16x16_bf16 v[48:51], a[156:157], a[12:13], v[48:51]// 000000005C14: D3E10030 1CC2199C
	v_cmp_u_f32_e64 s[74:75], v128, v128                       // 000000005C1C: D048004A 00030180
	v_add3_u32 v248, v128, v251, 1                             // 000000005C24: D1FF00F8 0207F780
	v_cndmask_b32_e64 v28, v248, v250, s[74:75]                // 000000005C2C: D100001C 012BF5F8
	v_cmp_u_f32_e64 s[74:75], v129, v129                       // 000000005C34: D048004A 00030381
	v_add3_u32 v248, v129, v251, 1                             // 000000005C3C: D1FF00F8 0207F781
	v_cndmask_b32_e64 v29, v248, v250, s[74:75]                // 000000005C44: D100001D 012BF5F8
	v_perm_b32 v128, v29, v28, s64                             // 000000005C4C: D1ED0080 0102391D
	v_cmp_u_f32_e64 s[74:75], v130, v130                       // 000000005C54: D048004A 00030582
	v_add3_u32 v248, v130, v251, 1                             // 000000005C5C: D1FF00F8 0207F782
	v_cndmask_b32_e64 v28, v248, v250, s[74:75]                // 000000005C64: D100001C 012BF5F8
	v_cmp_u_f32_e64 s[74:75], v131, v131                       // 000000005C6C: D048004A 00030783
	v_add3_u32 v248, v131, v251, 1                             // 000000005C74: D1FF00F8 0207F783
	v_cndmask_b32_e64 v29, v248, v250, s[74:75]                // 000000005C7C: D100001D 012BF5F8
	v_perm_b32 v129, v29, v28, s64                             // 000000005C84: D1ED0081 0102391D
	v_mfma_f32_16x16x16_bf16 v[48:51], a[158:159], a[14:15], v[48:51]// 000000005C8C: D3E10030 1CC21D9E
	v_cmp_u_f32_e64 s[74:75], v132, v132                       // 000000005C94: D048004A 00030984
	v_add3_u32 v248, v132, v251, 1                             // 000000005C9C: D1FF00F8 0207F784
	v_cndmask_b32_e64 v28, v248, v250, s[74:75]                // 000000005CA4: D100001C 012BF5F8
	v_cmp_u_f32_e64 s[74:75], v133, v133                       // 000000005CAC: D048004A 00030B85
	v_add3_u32 v248, v133, v251, 1                             // 000000005CB4: D1FF00F8 0207F785
	v_cndmask_b32_e64 v29, v248, v250, s[74:75]                // 000000005CBC: D100001D 012BF5F8
	v_perm_b32 v130, v29, v28, s64                             // 000000005CC4: D1ED0082 0102391D
	v_cmp_u_f32_e64 s[74:75], v134, v134                       // 000000005CCC: D048004A 00030D86
	v_add3_u32 v248, v134, v251, 1                             // 000000005CD4: D1FF00F8 0207F786
	v_cndmask_b32_e64 v28, v248, v250, s[74:75]                // 000000005CDC: D100001C 012BF5F8
	v_cmp_u_f32_e64 s[74:75], v135, v135                       // 000000005CE4: D048004A 00030F87
	v_add3_u32 v248, v135, v251, 1                             // 000000005CEC: D1FF00F8 0207F787
	v_cndmask_b32_e64 v29, v248, v250, s[74:75]                // 000000005CF4: D100001D 012BF5F8
	v_perm_b32 v131, v29, v28, s64                             // 000000005CFC: D1ED0083 0102391D
	v_mfma_f32_16x16x16_bf16 v[52:55], a[144:145], a[16:17], 0 // 000000005D04: D3E10034 1A022190
	ds_write_b64 v22, v[128:129] offset:24320                  // 000000005D0C: D89A5F00 00008016
	v_mfma_f32_16x16x16_bf16 v[52:55], a[146:147], a[18:19], v[52:55]// 000000005D14: D3E10034 1CD22592
	v_mfma_f32_16x16x16_bf16 v[52:55], a[148:149], a[20:21], v[52:55]// 000000005D1C: D3E10034 1CD22994
	ds_write_b64 v22, v[130:131] offset:24864                  // 000000005D24: D89A6120 00008216
	v_mfma_f32_16x16x16_bf16 v[52:55], a[150:151], a[22:23], v[52:55]// 000000005D2C: D3E10034 1CD22D96
	v_mfma_f32_16x16x16_bf16 v[52:55], a[152:153], a[24:25], v[52:55]// 000000005D34: D3E10034 1CD23198
	ds_read_b128 v[108:111], v14 offset:13056                  // 000000005D3C: D9FE3300 6C00000E
	ds_write_b32 v13, v36                                      // 000000005D44: D81A0000 0000240D
	v_mfma_f32_16x16x16_bf16 v[52:55], a[154:155], a[26:27], v[52:55]// 000000005D4C: D3E10034 1CD2359A
	v_mfma_f32_16x16x16_bf16 v[52:55], a[156:157], a[28:29], v[52:55]// 000000005D54: D3E10034 1CD2399C
	v_mfma_f32_16x16x16_bf16 v[52:55], a[158:159], a[30:31], v[52:55]// 000000005D5C: D3E10034 1CD23D9E
	ds_read_b128 v[112:115], v14 offset:13568                  // 000000005D64: D9FE3500 7000000E
	ds_write_b32 v13, v37 offset:1056                          // 000000005D6C: D81A0420 0000250D
	v_mfma_f32_16x16x16_bf16 v[56:59], a[144:145], a[32:33], 0 // 000000005D74: D3E10038 1A024190
	v_mfma_f32_16x16x16_bf16 v[56:59], a[146:147], a[34:35], v[56:59]// 000000005D7C: D3E10038 1CE24592
	v_mfma_f32_16x16x16_bf16 v[56:59], a[148:149], a[36:37], v[56:59]// 000000005D84: D3E10038 1CE24994
	ds_read_b128 v[116:119], v14 offset:15232                  // 000000005D8C: D9FE3B80 7400000E
	ds_write_b32 v13, v38 offset:128                           // 000000005D94: D81A0080 0000260D
	v_mfma_f32_16x16x16_bf16 v[56:59], a[150:151], a[38:39], v[56:59]// 000000005D9C: D3E10038 1CE24D96
	v_mfma_f32_16x16x16_bf16 v[56:59], a[152:153], a[40:41], v[56:59]// 000000005DA4: D3E10038 1CE25198
	v_mfma_f32_16x16x16_bf16 v[56:59], a[154:155], a[42:43], v[56:59]// 000000005DAC: D3E10038 1CE2559A
	ds_read_b128 v[120:123], v14 offset:15744                  // 000000005DB4: D9FE3D80 7800000E
	ds_write_b32 v13, v39 offset:1184                          // 000000005DBC: D81A04A0 0000270D
	v_mfma_f32_16x16x16_bf16 v[56:59], a[156:157], a[44:45], v[56:59]// 000000005DC4: D3E10038 1CE2599C
	v_mfma_f32_16x16x16_bf16 v[56:59], a[158:159], a[46:47], v[56:59]// 000000005DCC: D3E10038 1CE25D9E
	s_cmp_lt_i32 s73, 3                                        // 000000005DD4: BF048349
	s_cbranch_scc0 label_0806                                  // 000000005DD8: BF84000F
	s_cmp_eq_i32 s73, 1                                        // 000000005DDC: BF008149
	s_cbranch_scc1 label_07FC                                  // 000000005DE0: BF850003
	s_cmp_eq_i32 s73, 2                                        // 000000005DE4: BF008249
	s_cbranch_scc1 label_0801                                  // 000000005DE8: BF850006
	s_branch label_0806                                        // 000000005DEC: BF82000A

0000000000005df0 <label_07FC>:
	v_mov_b32_e32 v52, v151                                    // 000000005DF0: 7E680397
	v_mov_b32_e32 v53, v151                                    // 000000005DF4: 7E6A0397
	v_mov_b32_e32 v54, v151                                    // 000000005DF8: 7E6C0397
	v_mov_b32_e32 v55, v151                                    // 000000005DFC: 7E6E0397
	s_branch label_0801                                        // 000000005E00: BF820000

0000000000005e04 <label_0801>:
	v_mov_b32_e32 v56, v151                                    // 000000005E04: 7E700397
	v_mov_b32_e32 v57, v151                                    // 000000005E08: 7E720397
	v_mov_b32_e32 v58, v151                                    // 000000005E0C: 7E740397
	v_mov_b32_e32 v59, v151                                    // 000000005E10: 7E760397
	s_branch label_0806                                        // 000000005E14: BF820000

0000000000005e18 <label_0806>:
	s_waitcnt lgkmcnt(8)                                       // 000000005E18: BF8CC87F
	s_barrier                                                  // 000000005E1C: BF8A0000
	v_mfma_f32_16x16x16_bf16 v[72:75], v[92:93], a[96:97], 0   // 000000005E20: D3E10048 1202C15C
	ds_read_b128 a[144:147], v14 offset:4352                   // 000000005E28: DBFE1100 9000000E
	ds_read_b128 a[148:151], v14 offset:4864                   // 000000005E30: DBFE1300 9400000E
	v_mfma_f32_16x16x16_bf16 v[72:75], v[94:95], a[98:99], v[72:75]// 000000005E38: D3E10048 1522C55E
	v_fma_f32 v48, v48, s57, -v124                             // 000000005E40: D1CB0030 85F07330
	v_fma_f32 v49, v49, s57, -v125                             // 000000005E48: D1CB0031 85F47331
	v_fma_f32 v50, v50, s57, -v126                             // 000000005E50: D1CB0032 85F87332
	v_mfma_f32_16x16x16_bf16 v[72:75], v[96:97], a[100:101], v[72:75]// 000000005E58: D3E10048 1522C960
	v_fma_f32 v51, v51, s57, -v127                             // 000000005E60: D1CB0033 85FC7333
	v_fma_f32 v52, v52, s57, -v124                             // 000000005E68: D1CB0034 85F07334
	v_fma_f32 v53, v53, s57, -v125                             // 000000005E70: D1CB0035 85F47335
	v_mfma_f32_16x16x16_bf16 v[72:75], v[98:99], a[102:103], v[72:75]// 000000005E78: D3E10048 1522CD62
	v_fma_f32 v54, v54, s57, -v126                             // 000000005E80: D1CB0036 85F87336
	v_fma_f32 v55, v55, s57, -v127                             // 000000005E88: D1CB0037 85FC7337
	v_fma_f32 v56, v56, s57, -v124                             // 000000005E90: D1CB0038 85F07338
	v_mfma_f32_16x16x16_bf16 v[72:75], v[100:101], a[104:105], v[72:75]// 000000005E98: D3E10048 1522D164
	ds_read_b128 a[152:155], v14 offset:6528                   // 000000005EA0: DBFE1980 9800000E
	ds_read_b128 a[156:159], v14 offset:7040                   // 000000005EA8: DBFE1B80 9C00000E
	v_mfma_f32_16x16x16_bf16 v[72:75], v[102:103], a[106:107], v[72:75]// 000000005EB0: D3E10048 1522D566
	v_fma_f32 v57, v57, s57, -v125                             // 000000005EB8: D1CB0039 85F47339
	v_fma_f32 v58, v58, s57, -v126                             // 000000005EC0: D1CB003A 85F8733A
	v_fma_f32 v59, v59, s57, -v127                             // 000000005EC8: D1CB003B 85FC733B
	v_mfma_f32_16x16x16_bf16 v[72:75], v[104:105], a[108:109], v[72:75]// 000000005ED0: D3E10048 1522D968
	v_exp_f32_e32 v48, v48                                     // 000000005ED8: 7E604130
	v_mfma_f32_16x16x16_bf16 v[72:75], v[106:107], a[110:111], v[72:75]// 000000005EDC: D3E10048 1522DD6A
	v_exp_f32_e32 v49, v49                                     // 000000005EE4: 7E624131
	v_mfma_f32_16x16x16_bf16 v[76:79], v[92:93], a[112:113], 0 // 000000005EE8: D3E1004C 1202E15C
	ds_read_b32 v136, v21 offset:24320                         // 000000005EF0: D86C5F00 88000015
	ds_read_b32 v137, v21 offset:24336                         // 000000005EF8: D86C5F10 89000015
	v_mfma_f32_16x16x16_bf16 v[76:79], v[94:95], a[114:115], v[76:79]// 000000005F00: D3E1004C 1532E55E
	v_exp_f32_e32 v50, v50                                     // 000000005F08: 7E644132
	v_mfma_f32_16x16x16_bf16 v[76:79], v[96:97], a[116:117], v[76:79]// 000000005F0C: D3E1004C 1532E960
	ds_read_b32 v138, v21 offset:26496                         // 000000005F14: D86C6780 8A000015
	ds_read_b32 v139, v21 offset:26512                         // 000000005F1C: D86C6790 8B000015
	v_mfma_f32_16x16x16_bf16 v[76:79], v[98:99], a[118:119], v[76:79]// 000000005F24: D3E1004C 1532ED62
	v_exp_f32_e32 v51, v51                                     // 000000005F2C: 7E664133
	v_mfma_f32_16x16x16_bf16 v[76:79], v[100:101], a[120:121], v[76:79]// 000000005F30: D3E1004C 1532F164
	v_exp_f32_e32 v52, v52                                     // 000000005F38: 7E684134
	v_mfma_f32_16x16x16_bf16 v[76:79], v[102:103], a[122:123], v[76:79]// 000000005F3C: D3E1004C 1532F566
	v_exp_f32_e32 v53, v53                                     // 000000005F44: 7E6A4135
	v_mfma_f32_16x16x16_bf16 v[76:79], v[104:105], a[124:125], v[76:79]// 000000005F48: D3E1004C 1532F968
	v_exp_f32_e32 v54, v54                                     // 000000005F50: 7E6C4136
	v_mfma_f32_16x16x16_bf16 v[76:79], v[106:107], a[126:127], v[76:79]// 000000005F54: D3E1004C 1532FD6A
	v_exp_f32_e32 v55, v55                                     // 000000005F5C: 7E6E4137
	v_mfma_f32_16x16x16_bf16 v[80:83], v[92:93], a[128:129], 0 // 000000005F60: D3E10050 1203015C
	v_exp_f32_e32 v56, v56                                     // 000000005F68: 7E704138
	v_mfma_f32_16x16x16_bf16 v[80:83], v[94:95], a[130:131], v[80:83]// 000000005F6C: D3E10050 1543055E
	v_exp_f32_e32 v57, v57                                     // 000000005F74: 7E724139
	v_mfma_f32_16x16x16_bf16 v[80:83], v[96:97], a[132:133], v[80:83]// 000000005F78: D3E10050 15430960
	v_exp_f32_e32 v58, v58                                     // 000000005F80: 7E74413A
	v_mfma_f32_16x16x16_bf16 v[80:83], v[98:99], a[134:135], v[80:83]// 000000005F84: D3E10050 15430D62
	v_exp_f32_e32 v59, v59                                     // 000000005F8C: 7E76413B
	v_mfma_f32_16x16x16_bf16 v[80:83], v[100:101], a[136:137], v[80:83]// 000000005F90: D3E10050 15431164
	v_cmp_u_f32_e64 s[74:75], v48, v48                         // 000000005F98: D048004A 00026130
	v_add3_u32 v248, v48, v251, 1                              // 000000005FA0: D1FF00F8 0207F730
	v_cndmask_b32_e64 v28, v248, v250, s[74:75]                // 000000005FA8: D100001C 012BF5F8
	v_cmp_u_f32_e64 s[74:75], v49, v49                         // 000000005FB0: D048004A 00026331
	v_add3_u32 v248, v49, v251, 1                              // 000000005FB8: D1FF00F8 0207F731
	v_cndmask_b32_e64 v29, v248, v250, s[74:75]                // 000000005FC0: D100001D 012BF5F8
	v_perm_b32 v144, v29, v28, s64                             // 000000005FC8: D1ED0090 0102391D
	v_cmp_u_f32_e64 s[74:75], v50, v50                         // 000000005FD0: D048004A 00026532
	v_add3_u32 v248, v50, v251, 1                              // 000000005FD8: D1FF00F8 0207F732
	v_cndmask_b32_e64 v28, v248, v250, s[74:75]                // 000000005FE0: D100001C 012BF5F8
	v_cmp_u_f32_e64 s[74:75], v51, v51                         // 000000005FE8: D048004A 00026733
	v_add3_u32 v248, v51, v251, 1                              // 000000005FF0: D1FF00F8 0207F733
	v_cndmask_b32_e64 v29, v248, v250, s[74:75]                // 000000005FF8: D100001D 012BF5F8
	v_perm_b32 v145, v29, v28, s64                             // 000000006000: D1ED0091 0102391D
	v_cmp_u_f32_e64 s[74:75], v52, v52                         // 000000006008: D048004A 00026934
	v_add3_u32 v248, v52, v251, 1                              // 000000006010: D1FF00F8 0207F734
	v_cndmask_b32_e64 v28, v248, v250, s[74:75]                // 000000006018: D100001C 012BF5F8
	v_cmp_u_f32_e64 s[74:75], v53, v53                         // 000000006020: D048004A 00026B35
	v_add3_u32 v248, v53, v251, 1                              // 000000006028: D1FF00F8 0207F735
	v_cndmask_b32_e64 v29, v248, v250, s[74:75]                // 000000006030: D100001D 012BF5F8
	v_perm_b32 v146, v29, v28, s64                             // 000000006038: D1ED0092 0102391D
	v_mfma_f32_16x16x16_bf16 v[80:83], v[102:103], a[138:139], v[80:83]// 000000006040: D3E10050 15431566
	v_cmp_u_f32_e64 s[74:75], v54, v54                         // 000000006048: D048004A 00026D36
	v_add3_u32 v248, v54, v251, 1                              // 000000006050: D1FF00F8 0207F736
	v_cndmask_b32_e64 v28, v248, v250, s[74:75]                // 000000006058: D100001C 012BF5F8
	v_cmp_u_f32_e64 s[74:75], v55, v55                         // 000000006060: D048004A 00026F37
	v_add3_u32 v248, v55, v251, 1                              // 000000006068: D1FF00F8 0207F737
	v_cndmask_b32_e64 v29, v248, v250, s[74:75]                // 000000006070: D100001D 012BF5F8
	v_perm_b32 v147, v29, v28, s64                             // 000000006078: D1ED0093 0102391D
	v_cmp_u_f32_e64 s[74:75], v56, v56                         // 000000006080: D048004A 00027138
	v_add3_u32 v248, v56, v251, 1                              // 000000006088: D1FF00F8 0207F738
	v_cndmask_b32_e64 v28, v248, v250, s[74:75]                // 000000006090: D100001C 012BF5F8
	v_cmp_u_f32_e64 s[74:75], v57, v57                         // 000000006098: D048004A 00027339
	v_add3_u32 v248, v57, v251, 1                              // 0000000060A0: D1FF00F8 0207F739
	v_cndmask_b32_e64 v29, v248, v250, s[74:75]                // 0000000060A8: D100001D 012BF5F8
	v_perm_b32 v148, v29, v28, s64                             // 0000000060B0: D1ED0094 0102391D
	v_cmp_u_f32_e64 s[74:75], v58, v58                         // 0000000060B8: D048004A 0002753A
	v_add3_u32 v248, v58, v251, 1                              // 0000000060C0: D1FF00F8 0207F73A
	v_cndmask_b32_e64 v28, v248, v250, s[74:75]                // 0000000060C8: D100001C 012BF5F8
	v_cmp_u_f32_e64 s[74:75], v59, v59                         // 0000000060D0: D048004A 0002773B
	v_add3_u32 v248, v59, v251, 1                              // 0000000060D8: D1FF00F8 0207F73B
	v_cndmask_b32_e64 v29, v248, v250, s[74:75]                // 0000000060E0: D100001D 012BF5F8
	v_perm_b32 v149, v29, v28, s64                             // 0000000060E8: D1ED0095 0102391D
	v_mfma_f32_16x16x16_bf16 v[80:83], v[104:105], a[140:141], v[80:83]// 0000000060F0: D3E10050 15431968
	s_add_u32 s32, s66, s32                                    // 0000000060F8: 80202042
	s_addc_u32 s33, 0, s33                                     // 0000000060FC: 82212180
	v_mfma_f32_16x16x16_bf16 v[80:83], v[106:107], a[142:143], v[80:83]// 000000006100: D3E10050 15431D6A
	s_waitcnt lgkmcnt(0)                                       // 000000006108: BF8CC07F
	s_barrier                                                  // 00000000610C: BF8A0000
	v_mfma_f32_16x16x16_bf16 v[152:155], v[108:109], v[144:145], v[152:155]// 000000006110: D3E10098 0663216C
	v_subrev_f32_dpp v72, v150, v72 quad_perm:[0,0,0,0] row_mask:0xf bank_mask:0xf// 000000006118: 069090FA FF000096
	v_subrev_f32_dpp v73, v150, v73 quad_perm:[1,1,1,1] row_mask:0xf bank_mask:0xf// 000000006120: 069292FA FF005596
	v_subrev_f32_dpp v74, v150, v74 quad_perm:[2,2,2,2] row_mask:0xf bank_mask:0xf// 000000006128: 069494FA FF00AA96
	v_mfma_f32_16x16x16_bf16 v[156:159], v[110:111], v[144:145], v[156:159]// 000000006130: D3E1009C 0673216E
	v_subrev_f32_dpp v75, v150, v75 quad_perm:[3,3,3,3] row_mask:0xf bank_mask:0xf// 000000006138: 069696FA FF00FF96
	v_subrev_f32_dpp v76, v150, v76 quad_perm:[0,0,0,0] row_mask:0xf bank_mask:0xf// 000000006140: 069898FA FF000096
	v_subrev_f32_dpp v77, v150, v77 quad_perm:[1,1,1,1] row_mask:0xf bank_mask:0xf// 000000006148: 069A9AFA FF005596
	v_mfma_f32_16x16x16_bf16 v[160:163], v[112:113], v[144:145], v[160:163]// 000000006150: D3E100A0 06832170
	v_mul_f32_e32 v72, v48, v72                                // 000000006158: 0A909130
	v_mul_f32_e32 v73, v49, v73                                // 00000000615C: 0A929331
	v_mul_f32_e32 v74, v50, v74                                // 000000006160: 0A949532
	v_mfma_f32_16x16x16_bf16 v[164:167], v[114:115], v[144:145], v[164:167]// 000000006164: D3E100A4 06932172
	v_mul_f32_e32 v75, v51, v75                                // 00000000616C: 0A969733
	v_mul_f32_e32 v76, v52, v76                                // 000000006170: 0A989934
	v_mul_f32_e32 v77, v53, v77                                // 000000006174: 0A9A9B35
	v_mfma_f32_16x16x16_bf16 v[168:171], v[116:117], v[144:145], v[168:171]// 000000006178: D3E100A8 06A32174
	v_cmp_u_f32_e64 s[74:75], v72, v72                         // 000000006180: D048004A 00029148
	v_add3_u32 v248, v72, v251, 1                              // 000000006188: D1FF00F8 0207F748
	v_cndmask_b32_e64 v28, v248, v250, s[74:75]                // 000000006190: D100001C 012BF5F8
	v_cmp_u_f32_e64 s[74:75], v73, v73                         // 000000006198: D048004A 00029349
	v_add3_u32 v248, v73, v251, 1                              // 0000000061A0: D1FF00F8 0207F749
	v_cndmask_b32_e64 v29, v248, v250, s[74:75]                // 0000000061A8: D100001D 012BF5F8
	v_perm_b32 v72, v29, v28, s64                              // 0000000061B0: D1ED0048 0102391D
	v_cmp_u_f32_e64 s[74:75], v74, v74                         // 0000000061B8: D048004A 0002954A
	v_add3_u32 v248, v74, v251, 1                              // 0000000061C0: D1FF00F8 0207F74A
	v_cndmask_b32_e64 v28, v248, v250, s[74:75]                // 0000000061C8: D100001C 012BF5F8
	v_cmp_u_f32_e64 s[74:75], v75, v75                         // 0000000061D0: D048004A 0002974B
	v_add3_u32 v248, v75, v251, 1                              // 0000000061D8: D1FF00F8 0207F74B
	v_cndmask_b32_e64 v29, v248, v250, s[74:75]                // 0000000061E0: D100001D 012BF5F8
	v_perm_b32 v73, v29, v28, s64                              // 0000000061E8: D1ED0049 0102391D
	v_cmp_u_f32_e64 s[74:75], v76, v76                         // 0000000061F0: D048004A 0002994C
	v_add3_u32 v248, v76, v251, 1                              // 0000000061F8: D1FF00F8 0207F74C
	v_cndmask_b32_e64 v28, v248, v250, s[74:75]                // 000000006200: D100001C 012BF5F8
	v_cmp_u_f32_e64 s[74:75], v77, v77                         // 000000006208: D048004A 00029B4D
	v_add3_u32 v248, v77, v251, 1                              // 000000006210: D1FF00F8 0207F74D
	v_cndmask_b32_e64 v29, v248, v250, s[74:75]                // 000000006218: D100001D 012BF5F8
	v_perm_b32 v74, v29, v28, s64                              // 000000006220: D1ED004A 0102391D
	v_mfma_f32_16x16x16_bf16 v[172:175], v[118:119], v[144:145], v[172:175]// 000000006228: D3E100AC 06B32176
	v_mov_b32_dpp v18, v72 quad_perm:[1,0,3,2] row_mask:0xf bank_mask:0xf// 000000006230: 7E2402FA FF00B148
	v_perm_b32 v48, v18, v72, v17                              // 000000006238: D1ED0030 04469112
	v_mov_b32_dpp v18, v73 quad_perm:[1,0,3,2] row_mask:0xf bank_mask:0xf// 000000006240: 7E2402FA FF00B149
	v_mfma_f32_16x16x16_bf16 v[176:179], v[120:121], v[144:145], v[176:179]// 000000006248: D3E100B0 06C32178
	v_perm_b32 v49, v18, v73, v17                              // 000000006250: D1ED0031 04469312
	v_mov_b32_dpp v18, v74 quad_perm:[1,0,3,2] row_mask:0xf bank_mask:0xf// 000000006258: 7E2402FA FF00B14A
	v_perm_b32 v50, v18, v74, v17                              // 000000006260: D1ED0032 04469512
	v_mfma_f32_16x16x16_bf16 v[180:183], v[122:123], v[144:145], v[180:183]// 000000006268: D3E100B4 06D3217A
	ds_write_b32 v20, v48 offset:17408                         // 000000006270: D81A4400 00003014
	v_mfma_f32_16x16x16_bf16 v[184:187], v[108:109], v[146:147], v[184:187]// 000000006278: D3E100B8 06E3256C
	v_subrev_f32_dpp v78, v150, v78 quad_perm:[2,2,2,2] row_mask:0xf bank_mask:0xf// 000000006280: 069C9CFA FF00AA96
	v_subrev_f32_dpp v79, v150, v79 quad_perm:[3,3,3,3] row_mask:0xf bank_mask:0xf// 000000006288: 069E9EFA FF00FF96
	v_subrev_f32_dpp v80, v150, v80 quad_perm:[0,0,0,0] row_mask:0xf bank_mask:0xf// 000000006290: 06A0A0FA FF000096
	v_mfma_f32_16x16x16_bf16 v[188:191], v[110:111], v[146:147], v[188:191]// 000000006298: D3E100BC 06F3256E
	ds_write_b32 v20, v49 offset:17952                         // 0000000062A0: D81A4620 00003114
	v_mfma_f32_16x16x16_bf16 v[192:195], v[112:113], v[146:147], v[192:195]// 0000000062A8: D3E100C0 07032570
	v_subrev_f32_dpp v81, v150, v81 quad_perm:[1,1,1,1] row_mask:0xf bank_mask:0xf// 0000000062B0: 06A2A2FA FF005596
	v_subrev_f32_dpp v82, v150, v82 quad_perm:[2,2,2,2] row_mask:0xf bank_mask:0xf// 0000000062B8: 06A4A4FA FF00AA96
	v_subrev_f32_dpp v83, v150, v83 quad_perm:[3,3,3,3] row_mask:0xf bank_mask:0xf// 0000000062C0: 06A6A6FA FF00FF96
	v_mfma_f32_16x16x16_bf16 v[196:199], v[114:115], v[146:147], v[196:199]// 0000000062C8: D3E100C4 07132572
	ds_write_b32 v20, v50 offset:19712                         // 0000000062D0: D81A4D00 00003214
	v_mfma_f32_16x16x16_bf16 v[200:203], v[116:117], v[146:147], v[200:203]// 0000000062D8: D3E100C8 07232574
	v_mul_f32_e32 v78, v54, v78                                // 0000000062E0: 0A9C9D36
	v_mul_f32_e32 v79, v55, v79                                // 0000000062E4: 0A9E9F37
	v_mul_f32_e32 v80, v56, v80                                // 0000000062E8: 0AA0A138
	v_mfma_f32_16x16x16_bf16 v[204:207], v[118:119], v[146:147], v[204:207]// 0000000062EC: D3E100CC 07332576
	v_mul_f32_e32 v81, v57, v81                                // 0000000062F4: 0AA2A339
	v_mul_f32_e32 v82, v58, v82                                // 0000000062F8: 0AA4A53A
	v_mul_f32_e32 v83, v59, v83                                // 0000000062FC: 0AA6A73B
	v_mfma_f32_16x16x16_bf16 v[208:211], v[120:121], v[146:147], v[208:211]// 000000006300: D3E100D0 07432578
	v_cmp_u_f32_e64 s[74:75], v78, v78                         // 000000006308: D048004A 00029D4E
	v_add3_u32 v248, v78, v251, 1                              // 000000006310: D1FF00F8 0207F74E
	v_cndmask_b32_e64 v28, v248, v250, s[74:75]                // 000000006318: D100001C 012BF5F8
	v_cmp_u_f32_e64 s[74:75], v79, v79                         // 000000006320: D048004A 00029F4F
	v_add3_u32 v248, v79, v251, 1                              // 000000006328: D1FF00F8 0207F74F
	v_cndmask_b32_e64 v29, v248, v250, s[74:75]                // 000000006330: D100001D 012BF5F8
	v_perm_b32 v75, v29, v28, s64                              // 000000006338: D1ED004B 0102391D
	v_cmp_u_f32_e64 s[74:75], v80, v80                         // 000000006340: D048004A 0002A150
	v_add3_u32 v248, v80, v251, 1                              // 000000006348: D1FF00F8 0207F750
	v_cndmask_b32_e64 v28, v248, v250, s[74:75]                // 000000006350: D100001C 012BF5F8
	v_cmp_u_f32_e64 s[74:75], v81, v81                         // 000000006358: D048004A 0002A351
	v_add3_u32 v248, v81, v251, 1                              // 000000006360: D1FF00F8 0207F751
	v_cndmask_b32_e64 v29, v248, v250, s[74:75]                // 000000006368: D100001D 012BF5F8
	v_perm_b32 v76, v29, v28, s64                              // 000000006370: D1ED004C 0102391D
	v_cmp_u_f32_e64 s[74:75], v82, v82                         // 000000006378: D048004A 0002A552
	v_add3_u32 v248, v82, v251, 1                              // 000000006380: D1FF00F8 0207F752
	v_cndmask_b32_e64 v28, v248, v250, s[74:75]                // 000000006388: D100001C 012BF5F8
	v_cmp_u_f32_e64 s[74:75], v83, v83                         // 000000006390: D048004A 0002A753
	v_add3_u32 v248, v83, v251, 1                              // 000000006398: D1FF00F8 0207F753
	v_cndmask_b32_e64 v29, v248, v250, s[74:75]                // 0000000063A0: D100001D 012BF5F8
	v_perm_b32 v77, v29, v28, s64                              // 0000000063A8: D1ED004D 0102391D
	v_mfma_f32_16x16x16_bf16 v[212:215], v[122:123], v[146:147], v[212:215]// 0000000063B0: D3E100D4 0753257A
	v_mov_b32_dpp v18, v75 quad_perm:[1,0,3,2] row_mask:0xf bank_mask:0xf// 0000000063B8: 7E2402FA FF00B14B
	v_perm_b32 v51, v18, v75, v17                              // 0000000063C0: D1ED0033 04469712
	v_mov_b32_dpp v18, v76 quad_perm:[1,0,3,2] row_mask:0xf bank_mask:0xf// 0000000063C8: 7E2402FA FF00B14C
	v_mfma_f32_16x16x16_bf16 v[216:219], v[108:109], v[148:149], v[216:219]// 0000000063D0: D3E100D8 0763296C
	v_perm_b32 v52, v18, v76, v17                              // 0000000063D8: D1ED0034 04469912
	v_mov_b32_dpp v18, v77 quad_perm:[1,0,3,2] row_mask:0xf bank_mask:0xf// 0000000063E0: 7E2402FA FF00B14D
	v_perm_b32 v53, v18, v77, v17                              // 0000000063E8: D1ED0035 04469B12
	v_mfma_f32_16x16x16_bf16 v[220:223], v[110:111], v[148:149], v[220:223]// 0000000063F0: D3E100DC 0773296E
	ds_write_b32 v20, v51 offset:20256                         // 0000000063F8: D81A4F20 00003314
	v_mfma_f32_16x16x16_bf16 v[224:227], v[112:113], v[148:149], v[224:227]// 000000006400: D3E100E0 07832970
	v_mfma_f32_16x16x16_bf16 v[228:231], v[114:115], v[148:149], v[228:231]// 000000006408: D3E100E4 07932972
	ds_write_b32 v20, v52 offset:22016                         // 000000006410: D81A5600 00003414
	ds_write_b32 v20, v53 offset:22560                         // 000000006418: D81A5820 00003514
	v_mfma_f32_16x16x16_bf16 v[232:235], v[116:117], v[148:149], v[232:235]// 000000006420: D3E100E8 07A32974
	v_mfma_f32_16x16x16_bf16 v[236:239], v[118:119], v[148:149], v[236:239]// 000000006428: D3E100EC 07B32976
	ds_write_b32 v15, v84 offset:4352                          // 000000006430: D81A1100 0000540F
	ds_write_b32 v15, v85 offset:5408                          // 000000006438: D81A1520 0000550F
	v_mfma_f32_16x16x16_bf16 v[240:243], v[120:121], v[148:149], v[240:243]// 000000006440: D3E100F0 07C32978
	s_nop 0                                                    // 000000006448: BF800000
	s_nop 0                                                    // 00000000644C: BF800000
	s_nop 0                                                    // 000000006450: BF800000
	v_mfma_f32_16x16x16_bf16 v[244:247], v[122:123], v[148:149], v[244:247]// 000000006454: D3E100F4 07D3297A
	ds_write_b32 v15, v86 offset:4480                          // 00000000645C: D81A1180 0000560F
	ds_write_b32 v15, v87 offset:5536                          // 000000006464: D81A15A0 0000570F
	s_barrier                                                  // 00000000646C: BF8A0000
	v_mfma_f32_16x16x16_bf16 a[160:163], a[144:145], v[72:73], a[160:163]// 000000006470: D3E180A0 0E829190
	global_atomic_pk_add_bf16 v6, v136, s[32:33]               // 000000006478: DD488000 00208806
	v_mfma_f32_16x16x16_bf16 a[164:167], a[146:147], v[72:73], a[164:167]// 000000006480: D3E180A4 0E929192
	ds_read_b32 v124, v23 offset:51200                         // 000000006488: D86CC800 7C000017
	ds_read_b32 v150, v23 offset:51456                         // 000000006490: D86CC900 96000017
	v_mfma_f32_16x16x16_bf16 a[168:171], a[148:149], v[72:73], a[168:171]// 000000006498: D3E180A8 0EA29194
	s_waitcnt lgkmcnt(6)                                       // 0000000064A0: BF8CC67F
	s_barrier                                                  // 0000000064A4: BF8A0000
	v_mfma_f32_16x16x16_bf16 a[172:175], a[150:151], v[72:73], a[172:175]// 0000000064A8: D3E180AC 0EB29196
	ds_read_b128 v[48:51], v19 offset:17408                    // 0000000064B0: D9FE4400 30000013
	v_mfma_f32_16x16x16_bf16 a[176:179], a[152:153], v[72:73], a[176:179]// 0000000064B8: D3E180B0 0EC29198
	v_mfma_f32_16x16x16_bf16 a[180:183], a[154:155], v[72:73], a[180:183]// 0000000064C0: D3E180B4 0ED2919A
	ds_read_b128 v[52:55], v19 offset:18560                    // 0000000064C8: D9FE4880 34000013
	v_mfma_f32_16x16x16_bf16 a[184:187], a[156:157], v[72:73], a[184:187]// 0000000064D0: D3E180B8 0EE2919C
	global_atomic_pk_add_bf16 v8, v137, s[32:33]               // 0000000064D8: DD488000 00208908
	v_mfma_f32_16x16x16_bf16 a[188:191], a[158:159], v[72:73], a[188:191]// 0000000064E0: D3E180BC 0EF2919E
	ds_read_b128 v[56:59], v19 offset:19712                    // 0000000064E8: D9FE4D00 38000013
	v_mfma_f32_16x16x16_bf16 a[192:195], a[144:145], v[74:75], a[192:195]// 0000000064F0: D3E180C0 0F029590
	v_mfma_f32_16x16x16_bf16 a[196:199], a[146:147], v[74:75], a[196:199]// 0000000064F8: D3E180C4 0F129592
	ds_read_b128 v[60:63], v19 offset:20864                    // 000000006500: D9FE5180 3C000013
	v_mfma_f32_16x16x16_bf16 a[200:203], a[148:149], v[74:75], a[200:203]// 000000006508: D3E180C8 0F229594
	v_mfma_f32_16x16x16_bf16 a[204:207], a[150:151], v[74:75], a[204:207]// 000000006510: D3E180CC 0F329596
	ds_read_b128 v[64:67], v19 offset:22016                    // 000000006518: D9FE5600 40000013
	v_mfma_f32_16x16x16_bf16 a[208:211], a[152:153], v[74:75], a[208:211]// 000000006520: D3E180D0 0F429598
	global_atomic_pk_add_bf16 v6, v138, s[32:33] offset:128    // 000000006528: DD488080 00208A06
	v_mfma_f32_16x16x16_bf16 a[212:215], a[154:155], v[74:75], a[212:215]// 000000006530: D3E180D4 0F52959A
	ds_read_b128 v[68:71], v19 offset:23168                    // 000000006538: D9FE5A80 44000013
	v_mfma_f32_16x16x16_bf16 a[216:219], a[156:157], v[74:75], a[216:219]// 000000006540: D3E180D8 0F62959C
	v_mfma_f32_16x16x16_bf16 a[220:223], a[158:159], v[74:75], a[220:223]// 000000006548: D3E180DC 0F72959E
	ds_write_b32 v15, v88 offset:13056                         // 000000006550: D81A3300 0000580F
	v_mfma_f32_16x16x16_bf16 a[224:227], a[144:145], v[76:77], a[224:227]// 000000006558: D3E180E0 0F829990
	v_mfma_f32_16x16x16_bf16 a[228:231], a[146:147], v[76:77], a[228:231]// 000000006560: D3E180E4 0F929992
	ds_write_b32 v15, v89 offset:14112                         // 000000006568: D81A3720 0000590F
	v_mfma_f32_16x16x16_bf16 a[232:235], a[148:149], v[76:77], a[232:235]// 000000006570: D3E180E8 0FA29994
	global_atomic_pk_add_bf16 v8, v139, s[32:33] offset:128    // 000000006578: DD488080 00208B08
	v_mfma_f32_16x16x16_bf16 a[236:239], a[150:151], v[76:77], a[236:239]// 000000006580: D3E180EC 0FB29996
	ds_write_b32 v15, v90 offset:13184                         // 000000006588: D81A3380 00005A0F
	v_mfma_f32_16x16x16_bf16 a[240:243], a[152:153], v[76:77], a[240:243]// 000000006590: D3E180F0 0FC29998
	v_mfma_f32_16x16x16_bf16 a[244:247], a[154:155], v[76:77], a[244:247]// 000000006598: D3E180F4 0FD2999A
	ds_write_b32 v15, v91 offset:14240                         // 0000000065A0: D81A37A0 00005B0F
	v_mfma_f32_16x16x16_bf16 a[248:251], a[156:157], v[76:77], a[248:251]// 0000000065A8: D3E180F8 0FE2999C
	v_mfma_f32_16x16x16_bf16 a[252:255], a[158:159], v[76:77], a[252:255]// 0000000065B0: D3E180FC 0FF2999E
	s_waitcnt vmcnt(4) lgkmcnt(4)                              // 0000000065B8: BF8C0474
	s_barrier                                                  // 0000000065BC: BF8A0000
	v_mfma_f32_16x16x16_bf16 v[128:131], a[48:49], v[48:49], 0 // 0000000065C0: D3E10080 0A026130
	v_mul_f32_e32 v124, s49, v124                              // 0000000065C8: 0AF8F831
	s_nop 0                                                    // 0000000065CC: BF800000
	v_mfma_f32_16x16x16_bf16 v[128:131], a[52:53], v[50:51], v[128:131]// 0000000065D0: D3E10080 0E026534
	ds_read_b128 a[144:147], v12                               // 0000000065D8: DBFE0000 9000000C
	buffer_load_dword v36, v1, s[8:11], 0 idxen                // 0000000065E0: E0502000 80022401
	v_mfma_f32_16x16x16_bf16 v[128:131], a[56:57], v[52:53], v[128:131]// 0000000065E8: D3E10080 0E026938
	v_mfma_f32_16x16x16_bf16 v[128:131], a[60:61], v[54:55], v[128:131]// 0000000065F0: D3E10080 0E026D3C
	ds_read_b128 a[148:151], v12 offset:512                    // 0000000065F8: DBFE0200 9400000C
	buffer_load_dword v37, v2, s[8:11], 0 idxen                // 000000006600: E0502000 80022502
	v_mfma_f32_16x16x16_bf16 v[128:131], a[64:65], v[56:57], v[128:131]// 000000006608: D3E10080 0E027140
	v_perm_b32 v84, v33, v32, s63                              // 000000006610: D1ED0054 00FE4121
	v_perm_b32 v85, v33, v32, s64                              // 000000006618: D1ED0055 01024121
	v_mfma_f32_16x16x16_bf16 v[128:131], a[68:69], v[58:59], v[128:131]// 000000006620: D3E10080 0E027544
	ds_read_b128 a[152:155], v12 offset:2176                   // 000000006628: DBFE0880 9800000C
	buffer_load_dword v38, v3, s[8:11], 0 idxen                // 000000006630: E0502000 80022603
	v_mfma_f32_16x16x16_bf16 v[128:131], a[72:73], v[60:61], v[128:131]// 000000006638: D3E10080 0E027948
	v_perm_b32 v86, v35, v34, s63                              // 000000006640: D1ED0056 00FE4523
	v_perm_b32 v87, v35, v34, s64                              // 000000006648: D1ED0057 01024523
	v_mfma_f32_16x16x16_bf16 v[128:131], a[76:77], v[62:63], v[128:131]// 000000006650: D3E10080 0E027D4C
	ds_read_b128 a[156:159], v12 offset:2688                   // 000000006658: DBFE0A80 9C00000C
	buffer_load_dword v39, v4, s[8:11], 0 idxen                // 000000006660: E0502000 80022704
	v_mfma_f32_16x16x16_bf16 v[128:131], a[80:81], v[64:65], v[128:131]// 000000006668: D3E10080 0E028150
	v_perm_b32 v88, v41, v40, s63                              // 000000006670: D1ED0058 00FE5129
	v_perm_b32 v89, v41, v40, s64                              // 000000006678: D1ED0059 01025129
	v_mfma_f32_16x16x16_bf16 v[128:131], a[84:85], v[66:67], v[128:131]// 000000006680: D3E10080 0E028554
	ds_read_b128 v[92:95], v12 offset:8704                     // 000000006688: D9FE2200 5C00000C
	buffer_load_dword v44, v1, s[20:23], 0 idxen               // 000000006690: E0502000 80052C01
	v_mfma_f32_16x16x16_bf16 v[128:131], a[88:89], v[68:69], v[128:131]// 000000006698: D3E10080 0E028958
	v_perm_b32 v90, v43, v42, s63                              // 0000000066A0: D1ED005A 00FE552B
	v_perm_b32 v91, v43, v42, s64                              // 0000000066A8: D1ED005B 0102552B
	v_mfma_f32_16x16x16_bf16 v[128:131], a[92:93], v[70:71], v[128:131]// 0000000066B0: D3E10080 0E028D5C
	ds_read_b128 v[96:99], v12 offset:9216                     // 0000000066B8: D9FE2400 6000000C
	buffer_load_dword v45, v2, s[20:23], 0 idxen               // 0000000066C0: E0502000 80052D02
	v_mfma_f32_16x16x16_bf16 v[132:135], a[50:51], v[48:49], 0 // 0000000066C8: D3E10084 0A026132
	v_mov_b32_dpp v127, v124 quad_perm:[3,3,3,3] row_mask:0xf bank_mask:0xf// 0000000066D0: 7EFE02FA FF00FF7C
	v_mov_b32_dpp v126, v124 quad_perm:[2,2,2,2] row_mask:0xf bank_mask:0xf// 0000000066D8: 7EFC02FA FF00AA7C
	v_mfma_f32_16x16x16_bf16 v[132:135], a[54:55], v[50:51], v[132:135]// 0000000066E0: D3E10084 0E126536
	ds_read_b128 v[100:103], v12 offset:10880                  // 0000000066E8: D9FE2A80 6400000C
	buffer_load_dword v46, v3, s[20:23], 0 idxen               // 0000000066F0: E0502000 80052E03
	v_mfma_f32_16x16x16_bf16 v[132:135], a[58:59], v[52:53], v[132:135]// 0000000066F8: D3E10084 0E12693A
	v_mov_b32_dpp v125, v124 quad_perm:[1,1,1,1] row_mask:0xf bank_mask:0xf// 000000006700: 7EFA02FA FF00557C
	v_mov_b32_dpp v124, v124 quad_perm:[0,0,0,0] row_mask:0xf bank_mask:0xf// 000000006708: 7EF802FA FF00007C
	s_add_u32 s60, 64, s59                                     // 000000006710: 803C3BC0
	v_mfma_f32_16x16x16_bf16 v[132:135], a[62:63], v[54:55], v[132:135]// 000000006714: D3E10084 0E126D3E
	ds_read_b128 v[104:107], v12 offset:11392                  // 00000000671C: D9FE2C80 6800000C
	buffer_load_dword v47, v4, s[20:23], 0 idxen               // 000000006724: E0502000 80052F04
	v_mfma_f32_16x16x16_bf16 v[132:135], a[66:67], v[56:57], v[132:135]// 00000000672C: D3E10084 0E127142
	s_cmp_lt_u32 s60, s58                                      // 000000006734: BF0A3A3C
	s_cselect_b32 s68, s68, 0                                  // 000000006738: 85448044
	s_cselect_b32 s69, s69, 0                                  // 00000000673C: 85458045
	v_mfma_f32_16x16x16_bf16 v[132:135], a[70:71], v[58:59], v[132:135]// 000000006740: D3E10084 0E127546
	buffer_load_dword v11, s[24:27], 0 idxen lds               // 000000006748: E0512000 8006000B
	v_mfma_f32_16x16x16_bf16 v[132:135], a[74:75], v[60:61], v[132:135]// 000000006750: D3E10084 0E12794A
	s_add_u32 s8, s68, s8                                      // 000000006758: 80080844
	s_addc_u32 s9, 0, s9                                       // 00000000675C: 82090980
	v_mfma_f32_16x16x16_bf16 v[132:135], a[78:79], v[62:63], v[132:135]// 000000006760: D3E10084 0E127D4E
	s_add_u32 s20, s68, s20                                    // 000000006768: 80141444
	s_addc_u32 s21, 0, s21                                     // 00000000676C: 82151580
	v_mfma_f32_16x16x16_bf16 v[132:135], a[82:83], v[64:65], v[132:135]// 000000006770: D3E10084 0E128152
	s_mov_b32 m0, s76                                          // 000000006778: BEFC004C
	v_add_u32_e32 v11, s69, v11                                // 00000000677C: 68161645
	v_mfma_f32_16x16x16_bf16 v[132:135], a[86:87], v[66:67], v[132:135]// 000000006780: D3E10084 0E128556
	s_cmp_ge_u32 s59, 16                                       // 000000006788: BF09903B
	s_cselect_b32 s66, s67, s66                                // 00000000678C: 85424243
	v_mfma_f32_16x16x16_bf16 v[132:135], a[90:91], v[68:69], v[132:135]// 000000006790: D3E10084 0E12895A
	s_addk_i32 s59, 0x10                                       // 000000006798: B73B0010
	s_nop 0                                                    // 00000000679C: BF800000
	s_cmp_lt_i32 s59, s58                                      // 0000000067A0: BF043A3B
	v_mfma_f32_16x16x16_bf16 v[132:135], a[94:95], v[70:71], v[132:135]// 0000000067A4: D3E10084 0E128D5E
	s_cbranch_scc0 label_0D72                                  // 0000000067AC: BF840306
	s_waitcnt lgkmcnt(4)                                       // 0000000067B0: BF8CC47F
	s_barrier                                                  // 0000000067B4: BF8A0000
	v_mfma_f32_16x16x16_bf16 v[48:51], a[144:145], a[0:1], 0   // 0000000067B8: D3E10030 1A020190
	ds_write_b32 v13, v40 offset:8704                          // 0000000067C0: D81A2200 0000280D
	ds_write_b32 v13, v41 offset:9760                          // 0000000067C8: D81A2620 0000290D
	v_mfma_f32_16x16x16_bf16 v[48:51], a[146:147], a[2:3], v[48:51]// 0000000067D0: D3E10030 1CC20592
	v_mul_f32_e32 v128, s48, v128                              // 0000000067D8: 0B010030
	v_mul_f32_e32 v129, s48, v129                              // 0000000067DC: 0B030230
	v_mfma_f32_16x16x16_bf16 v[48:51], a[148:149], a[4:5], v[48:51]// 0000000067E0: D3E10030 1CC20994
	ds_write_b32 v13, v42 offset:8832                          // 0000000067E8: D81A2280 00002A0D
	ds_write_b32 v13, v43 offset:9888                          // 0000000067F0: D81A26A0 00002B0D
	v_mfma_f32_16x16x16_bf16 v[48:51], a[150:151], a[6:7], v[48:51]// 0000000067F8: D3E10030 1CC20D96
	v_mul_f32_e32 v130, s48, v130                              // 000000006800: 0B050430
	v_mul_f32_e32 v131, s48, v131                              // 000000006804: 0B070630
	v_mfma_f32_16x16x16_bf16 v[48:51], a[152:153], a[8:9], v[48:51]// 000000006808: D3E10030 1CC21198
	v_mul_f32_e32 v132, s48, v132                              // 000000006810: 0B090830
	v_mul_f32_e32 v133, s48, v133                              // 000000006814: 0B0B0A30
	v_mfma_f32_16x16x16_bf16 v[48:51], a[154:155], a[10:11], v[48:51]// 000000006818: D3E10030 1CC2159A
	v_mul_f32_e32 v134, s48, v134                              // 000000006820: 0B0D0C30
	v_mul_f32_e32 v135, s48, v135                              // 000000006824: 0B0F0E30
	v_mfma_f32_16x16x16_bf16 v[48:51], a[156:157], a[12:13], v[48:51]// 000000006828: D3E10030 1CC2199C
	v_cmp_u_f32_e64 s[74:75], v128, v128                       // 000000006830: D048004A 00030180
	v_add3_u32 v248, v128, v251, 1                             // 000000006838: D1FF00F8 0207F780
	v_cndmask_b32_e64 v28, v248, v250, s[74:75]                // 000000006840: D100001C 012BF5F8
	v_cmp_u_f32_e64 s[74:75], v129, v129                       // 000000006848: D048004A 00030381
	v_add3_u32 v248, v129, v251, 1                             // 000000006850: D1FF00F8 0207F781
	v_cndmask_b32_e64 v29, v248, v250, s[74:75]                // 000000006858: D100001D 012BF5F8
	v_perm_b32 v128, v29, v28, s64                             // 000000006860: D1ED0080 0102391D
	v_cmp_u_f32_e64 s[74:75], v130, v130                       // 000000006868: D048004A 00030582
	v_add3_u32 v248, v130, v251, 1                             // 000000006870: D1FF00F8 0207F782
	v_cndmask_b32_e64 v28, v248, v250, s[74:75]                // 000000006878: D100001C 012BF5F8
	v_cmp_u_f32_e64 s[74:75], v131, v131                       // 000000006880: D048004A 00030783
	v_add3_u32 v248, v131, v251, 1                             // 000000006888: D1FF00F8 0207F783
	v_cndmask_b32_e64 v29, v248, v250, s[74:75]                // 000000006890: D100001D 012BF5F8
	v_perm_b32 v129, v29, v28, s64                             // 000000006898: D1ED0081 0102391D
	v_mfma_f32_16x16x16_bf16 v[48:51], a[158:159], a[14:15], v[48:51]// 0000000068A0: D3E10030 1CC21D9E
	v_cmp_u_f32_e64 s[74:75], v132, v132                       // 0000000068A8: D048004A 00030984
	v_add3_u32 v248, v132, v251, 1                             // 0000000068B0: D1FF00F8 0207F784
	v_cndmask_b32_e64 v28, v248, v250, s[74:75]                // 0000000068B8: D100001C 012BF5F8
	v_cmp_u_f32_e64 s[74:75], v133, v133                       // 0000000068C0: D048004A 00030B85
	v_add3_u32 v248, v133, v251, 1                             // 0000000068C8: D1FF00F8 0207F785
	v_cndmask_b32_e64 v29, v248, v250, s[74:75]                // 0000000068D0: D100001D 012BF5F8
	v_perm_b32 v130, v29, v28, s64                             // 0000000068D8: D1ED0082 0102391D
	v_cmp_u_f32_e64 s[74:75], v134, v134                       // 0000000068E0: D048004A 00030D86
	v_add3_u32 v248, v134, v251, 1                             // 0000000068E8: D1FF00F8 0207F786
	v_cndmask_b32_e64 v28, v248, v250, s[74:75]                // 0000000068F0: D100001C 012BF5F8
	v_cmp_u_f32_e64 s[74:75], v135, v135                       // 0000000068F8: D048004A 00030F87
	v_add3_u32 v248, v135, v251, 1                             // 000000006900: D1FF00F8 0207F787
	v_cndmask_b32_e64 v29, v248, v250, s[74:75]                // 000000006908: D100001D 012BF5F8
	v_perm_b32 v131, v29, v28, s64                             // 000000006910: D1ED0083 0102391D
	v_mfma_f32_16x16x16_bf16 v[52:55], a[144:145], a[16:17], 0 // 000000006918: D3E10034 1A022190
	ds_write_b64 v22, v[128:129] offset:24320                  // 000000006920: D89A5F00 00008016
	v_mfma_f32_16x16x16_bf16 v[52:55], a[146:147], a[18:19], v[52:55]// 000000006928: D3E10034 1CD22592
	v_mfma_f32_16x16x16_bf16 v[52:55], a[148:149], a[20:21], v[52:55]// 000000006930: D3E10034 1CD22994
	ds_write_b64 v22, v[130:131] offset:24864                  // 000000006938: D89A6120 00008216
	v_mfma_f32_16x16x16_bf16 v[52:55], a[150:151], a[22:23], v[52:55]// 000000006940: D3E10034 1CD22D96
	v_mfma_f32_16x16x16_bf16 v[52:55], a[152:153], a[24:25], v[52:55]// 000000006948: D3E10034 1CD23198
	ds_read_b128 v[108:111], v14 offset:13056                  // 000000006950: D9FE3300 6C00000E
	ds_write_b32 v13, v32                                      // 000000006958: D81A0000 0000200D
	v_mfma_f32_16x16x16_bf16 v[52:55], a[154:155], a[26:27], v[52:55]// 000000006960: D3E10034 1CD2359A
	v_mfma_f32_16x16x16_bf16 v[52:55], a[156:157], a[28:29], v[52:55]// 000000006968: D3E10034 1CD2399C
	v_mfma_f32_16x16x16_bf16 v[52:55], a[158:159], a[30:31], v[52:55]// 000000006970: D3E10034 1CD23D9E
	ds_read_b128 v[112:115], v14 offset:13568                  // 000000006978: D9FE3500 7000000E
	ds_write_b32 v13, v33 offset:1056                          // 000000006980: D81A0420 0000210D
	v_mfma_f32_16x16x16_bf16 v[56:59], a[144:145], a[32:33], 0 // 000000006988: D3E10038 1A024190
	v_mfma_f32_16x16x16_bf16 v[56:59], a[146:147], a[34:35], v[56:59]// 000000006990: D3E10038 1CE24592
	v_mfma_f32_16x16x16_bf16 v[56:59], a[148:149], a[36:37], v[56:59]// 000000006998: D3E10038 1CE24994
	ds_read_b128 v[116:119], v14 offset:15232                  // 0000000069A0: D9FE3B80 7400000E
	ds_write_b32 v13, v34 offset:128                           // 0000000069A8: D81A0080 0000220D
	v_mfma_f32_16x16x16_bf16 v[56:59], a[150:151], a[38:39], v[56:59]// 0000000069B0: D3E10038 1CE24D96
	v_mfma_f32_16x16x16_bf16 v[56:59], a[152:153], a[40:41], v[56:59]// 0000000069B8: D3E10038 1CE25198
	v_mfma_f32_16x16x16_bf16 v[56:59], a[154:155], a[42:43], v[56:59]// 0000000069C0: D3E10038 1CE2559A
	ds_read_b128 v[120:123], v14 offset:15744                  // 0000000069C8: D9FE3D80 7800000E
	ds_write_b32 v13, v35 offset:1184                          // 0000000069D0: D81A04A0 0000230D
	v_mfma_f32_16x16x16_bf16 v[56:59], a[156:157], a[44:45], v[56:59]// 0000000069D8: D3E10038 1CE2599C
	v_mfma_f32_16x16x16_bf16 v[56:59], a[158:159], a[46:47], v[56:59]// 0000000069E0: D3E10038 1CE25D9E
	s_cmp_lt_i32 s73, 3                                        // 0000000069E8: BF048349
	s_cbranch_scc0 label_0B0B                                  // 0000000069EC: BF84000F
	s_cmp_eq_i32 s73, 1                                        // 0000000069F0: BF008149
	s_cbranch_scc1 label_0B01                                  // 0000000069F4: BF850003
	s_cmp_eq_i32 s73, 2                                        // 0000000069F8: BF008249
	s_cbranch_scc1 label_0B06                                  // 0000000069FC: BF850006
	s_branch label_0B0B                                        // 000000006A00: BF82000A

0000000000006a04 <label_0B01>:
	v_mov_b32_e32 v52, v151                                    // 000000006A04: 7E680397
	v_mov_b32_e32 v53, v151                                    // 000000006A08: 7E6A0397
	v_mov_b32_e32 v54, v151                                    // 000000006A0C: 7E6C0397
	v_mov_b32_e32 v55, v151                                    // 000000006A10: 7E6E0397
	s_branch label_0B06                                        // 000000006A14: BF820000

0000000000006a18 <label_0B06>:
	v_mov_b32_e32 v56, v151                                    // 000000006A18: 7E700397
	v_mov_b32_e32 v57, v151                                    // 000000006A1C: 7E720397
	v_mov_b32_e32 v58, v151                                    // 000000006A20: 7E740397
	v_mov_b32_e32 v59, v151                                    // 000000006A24: 7E760397
	s_branch label_0B0B                                        // 000000006A28: BF820000

0000000000006a2c <label_0B0B>:
	s_waitcnt lgkmcnt(8)                                       // 000000006A2C: BF8CC87F
	s_barrier                                                  // 000000006A30: BF8A0000
	v_mfma_f32_16x16x16_bf16 v[72:75], v[92:93], a[96:97], 0   // 000000006A34: D3E10048 1202C15C
	ds_read_b128 a[144:147], v14 offset:4352                   // 000000006A3C: DBFE1100 9000000E
	ds_read_b128 a[148:151], v14 offset:4864                   // 000000006A44: DBFE1300 9400000E
	v_mfma_f32_16x16x16_bf16 v[72:75], v[94:95], a[98:99], v[72:75]// 000000006A4C: D3E10048 1522C55E
	v_fma_f32 v48, v48, s57, -v124                             // 000000006A54: D1CB0030 85F07330
	v_fma_f32 v49, v49, s57, -v125                             // 000000006A5C: D1CB0031 85F47331
	v_fma_f32 v50, v50, s57, -v126                             // 000000006A64: D1CB0032 85F87332
	v_mfma_f32_16x16x16_bf16 v[72:75], v[96:97], a[100:101], v[72:75]// 000000006A6C: D3E10048 1522C960
	v_fma_f32 v51, v51, s57, -v127                             // 000000006A74: D1CB0033 85FC7333
	v_fma_f32 v52, v52, s57, -v124                             // 000000006A7C: D1CB0034 85F07334
	v_fma_f32 v53, v53, s57, -v125                             // 000000006A84: D1CB0035 85F47335
	v_mfma_f32_16x16x16_bf16 v[72:75], v[98:99], a[102:103], v[72:75]// 000000006A8C: D3E10048 1522CD62
	v_fma_f32 v54, v54, s57, -v126                             // 000000006A94: D1CB0036 85F87336
	v_fma_f32 v55, v55, s57, -v127                             // 000000006A9C: D1CB0037 85FC7337
	v_fma_f32 v56, v56, s57, -v124                             // 000000006AA4: D1CB0038 85F07338
	v_mfma_f32_16x16x16_bf16 v[72:75], v[100:101], a[104:105], v[72:75]// 000000006AAC: D3E10048 1522D164
	ds_read_b128 a[152:155], v14 offset:6528                   // 000000006AB4: DBFE1980 9800000E
	ds_read_b128 a[156:159], v14 offset:7040                   // 000000006ABC: DBFE1B80 9C00000E
	v_mfma_f32_16x16x16_bf16 v[72:75], v[102:103], a[106:107], v[72:75]// 000000006AC4: D3E10048 1522D566
	v_fma_f32 v57, v57, s57, -v125                             // 000000006ACC: D1CB0039 85F47339
	v_fma_f32 v58, v58, s57, -v126                             // 000000006AD4: D1CB003A 85F8733A
	v_fma_f32 v59, v59, s57, -v127                             // 000000006ADC: D1CB003B 85FC733B
	v_mfma_f32_16x16x16_bf16 v[72:75], v[104:105], a[108:109], v[72:75]// 000000006AE4: D3E10048 1522D968
	v_exp_f32_e32 v48, v48                                     // 000000006AEC: 7E604130
	v_mfma_f32_16x16x16_bf16 v[72:75], v[106:107], a[110:111], v[72:75]// 000000006AF0: D3E10048 1522DD6A
	v_exp_f32_e32 v49, v49                                     // 000000006AF8: 7E624131
	v_mfma_f32_16x16x16_bf16 v[76:79], v[92:93], a[112:113], 0 // 000000006AFC: D3E1004C 1202E15C
	ds_read_b32 v136, v21 offset:24320                         // 000000006B04: D86C5F00 88000015
	ds_read_b32 v137, v21 offset:24336                         // 000000006B0C: D86C5F10 89000015
	v_mfma_f32_16x16x16_bf16 v[76:79], v[94:95], a[114:115], v[76:79]// 000000006B14: D3E1004C 1532E55E
	v_exp_f32_e32 v50, v50                                     // 000000006B1C: 7E644132
	v_mfma_f32_16x16x16_bf16 v[76:79], v[96:97], a[116:117], v[76:79]// 000000006B20: D3E1004C 1532E960
	ds_read_b32 v138, v21 offset:26496                         // 000000006B28: D86C6780 8A000015
	ds_read_b32 v139, v21 offset:26512                         // 000000006B30: D86C6790 8B000015
	v_mfma_f32_16x16x16_bf16 v[76:79], v[98:99], a[118:119], v[76:79]// 000000006B38: D3E1004C 1532ED62
	v_exp_f32_e32 v51, v51                                     // 000000006B40: 7E664133
	v_mfma_f32_16x16x16_bf16 v[76:79], v[100:101], a[120:121], v[76:79]// 000000006B44: D3E1004C 1532F164
	v_exp_f32_e32 v52, v52                                     // 000000006B4C: 7E684134
	v_mfma_f32_16x16x16_bf16 v[76:79], v[102:103], a[122:123], v[76:79]// 000000006B50: D3E1004C 1532F566
	v_exp_f32_e32 v53, v53                                     // 000000006B58: 7E6A4135
	v_mfma_f32_16x16x16_bf16 v[76:79], v[104:105], a[124:125], v[76:79]// 000000006B5C: D3E1004C 1532F968
	v_exp_f32_e32 v54, v54                                     // 000000006B64: 7E6C4136
	v_mfma_f32_16x16x16_bf16 v[76:79], v[106:107], a[126:127], v[76:79]// 000000006B68: D3E1004C 1532FD6A
	v_exp_f32_e32 v55, v55                                     // 000000006B70: 7E6E4137
	v_mfma_f32_16x16x16_bf16 v[80:83], v[92:93], a[128:129], 0 // 000000006B74: D3E10050 1203015C
	v_exp_f32_e32 v56, v56                                     // 000000006B7C: 7E704138
	v_mfma_f32_16x16x16_bf16 v[80:83], v[94:95], a[130:131], v[80:83]// 000000006B80: D3E10050 1543055E
	v_exp_f32_e32 v57, v57                                     // 000000006B88: 7E724139
	v_mfma_f32_16x16x16_bf16 v[80:83], v[96:97], a[132:133], v[80:83]// 000000006B8C: D3E10050 15430960
	v_exp_f32_e32 v58, v58                                     // 000000006B94: 7E74413A
	v_mfma_f32_16x16x16_bf16 v[80:83], v[98:99], a[134:135], v[80:83]// 000000006B98: D3E10050 15430D62
	v_exp_f32_e32 v59, v59                                     // 000000006BA0: 7E76413B
	v_mfma_f32_16x16x16_bf16 v[80:83], v[100:101], a[136:137], v[80:83]// 000000006BA4: D3E10050 15431164
	v_cmp_u_f32_e64 s[74:75], v48, v48                         // 000000006BAC: D048004A 00026130
	v_add3_u32 v248, v48, v251, 1                              // 000000006BB4: D1FF00F8 0207F730
	v_cndmask_b32_e64 v28, v248, v250, s[74:75]                // 000000006BBC: D100001C 012BF5F8
	v_cmp_u_f32_e64 s[74:75], v49, v49                         // 000000006BC4: D048004A 00026331
	v_add3_u32 v248, v49, v251, 1                              // 000000006BCC: D1FF00F8 0207F731
	v_cndmask_b32_e64 v29, v248, v250, s[74:75]                // 000000006BD4: D100001D 012BF5F8
	v_perm_b32 v144, v29, v28, s64                             // 000000006BDC: D1ED0090 0102391D
	v_cmp_u_f32_e64 s[74:75], v50, v50                         // 000000006BE4: D048004A 00026532
	v_add3_u32 v248, v50, v251, 1                              // 000000006BEC: D1FF00F8 0207F732
	v_cndmask_b32_e64 v28, v248, v250, s[74:75]                // 000000006BF4: D100001C 012BF5F8
	v_cmp_u_f32_e64 s[74:75], v51, v51                         // 000000006BFC: D048004A 00026733
	v_add3_u32 v248, v51, v251, 1                              // 000000006C04: D1FF00F8 0207F733
	v_cndmask_b32_e64 v29, v248, v250, s[74:75]                // 000000006C0C: D100001D 012BF5F8
	v_perm_b32 v145, v29, v28, s64                             // 000000006C14: D1ED0091 0102391D
	v_cmp_u_f32_e64 s[74:75], v52, v52                         // 000000006C1C: D048004A 00026934
	v_add3_u32 v248, v52, v251, 1                              // 000000006C24: D1FF00F8 0207F734
	v_cndmask_b32_e64 v28, v248, v250, s[74:75]                // 000000006C2C: D100001C 012BF5F8
	v_cmp_u_f32_e64 s[74:75], v53, v53                         // 000000006C34: D048004A 00026B35
	v_add3_u32 v248, v53, v251, 1                              // 000000006C3C: D1FF00F8 0207F735
	v_cndmask_b32_e64 v29, v248, v250, s[74:75]                // 000000006C44: D100001D 012BF5F8
	v_perm_b32 v146, v29, v28, s64                             // 000000006C4C: D1ED0092 0102391D
	v_mfma_f32_16x16x16_bf16 v[80:83], v[102:103], a[138:139], v[80:83]// 000000006C54: D3E10050 15431566
	v_cmp_u_f32_e64 s[74:75], v54, v54                         // 000000006C5C: D048004A 00026D36
	v_add3_u32 v248, v54, v251, 1                              // 000000006C64: D1FF00F8 0207F736
	v_cndmask_b32_e64 v28, v248, v250, s[74:75]                // 000000006C6C: D100001C 012BF5F8
	v_cmp_u_f32_e64 s[74:75], v55, v55                         // 000000006C74: D048004A 00026F37
	v_add3_u32 v248, v55, v251, 1                              // 000000006C7C: D1FF00F8 0207F737
	v_cndmask_b32_e64 v29, v248, v250, s[74:75]                // 000000006C84: D100001D 012BF5F8
	v_perm_b32 v147, v29, v28, s64                             // 000000006C8C: D1ED0093 0102391D
	v_cmp_u_f32_e64 s[74:75], v56, v56                         // 000000006C94: D048004A 00027138
	v_add3_u32 v248, v56, v251, 1                              // 000000006C9C: D1FF00F8 0207F738
	v_cndmask_b32_e64 v28, v248, v250, s[74:75]                // 000000006CA4: D100001C 012BF5F8
	v_cmp_u_f32_e64 s[74:75], v57, v57                         // 000000006CAC: D048004A 00027339
	v_add3_u32 v248, v57, v251, 1                              // 000000006CB4: D1FF00F8 0207F739
	v_cndmask_b32_e64 v29, v248, v250, s[74:75]                // 000000006CBC: D100001D 012BF5F8
	v_perm_b32 v148, v29, v28, s64                             // 000000006CC4: D1ED0094 0102391D
	v_cmp_u_f32_e64 s[74:75], v58, v58                         // 000000006CCC: D048004A 0002753A
	v_add3_u32 v248, v58, v251, 1                              // 000000006CD4: D1FF00F8 0207F73A
	v_cndmask_b32_e64 v28, v248, v250, s[74:75]                // 000000006CDC: D100001C 012BF5F8
	v_cmp_u_f32_e64 s[74:75], v59, v59                         // 000000006CE4: D048004A 0002773B
	v_add3_u32 v248, v59, v251, 1                              // 000000006CEC: D1FF00F8 0207F73B
	v_cndmask_b32_e64 v29, v248, v250, s[74:75]                // 000000006CF4: D100001D 012BF5F8
	v_perm_b32 v149, v29, v28, s64                             // 000000006CFC: D1ED0095 0102391D
	v_mfma_f32_16x16x16_bf16 v[80:83], v[104:105], a[140:141], v[80:83]// 000000006D04: D3E10050 15431968
	s_add_u32 s32, s66, s32                                    // 000000006D0C: 80202042
	s_addc_u32 s33, 0, s33                                     // 000000006D10: 82212180
	v_mfma_f32_16x16x16_bf16 v[80:83], v[106:107], a[142:143], v[80:83]// 000000006D14: D3E10050 15431D6A
	s_waitcnt lgkmcnt(0)                                       // 000000006D1C: BF8CC07F
	s_barrier                                                  // 000000006D20: BF8A0000
	v_mfma_f32_16x16x16_bf16 v[152:155], v[108:109], v[144:145], v[152:155]// 000000006D24: D3E10098 0663216C
	v_subrev_f32_dpp v72, v150, v72 quad_perm:[0,0,0,0] row_mask:0xf bank_mask:0xf// 000000006D2C: 069090FA FF000096
	v_subrev_f32_dpp v73, v150, v73 quad_perm:[1,1,1,1] row_mask:0xf bank_mask:0xf// 000000006D34: 069292FA FF005596
	v_subrev_f32_dpp v74, v150, v74 quad_perm:[2,2,2,2] row_mask:0xf bank_mask:0xf// 000000006D3C: 069494FA FF00AA96
	v_mfma_f32_16x16x16_bf16 v[156:159], v[110:111], v[144:145], v[156:159]// 000000006D44: D3E1009C 0673216E
	v_subrev_f32_dpp v75, v150, v75 quad_perm:[3,3,3,3] row_mask:0xf bank_mask:0xf// 000000006D4C: 069696FA FF00FF96
	v_subrev_f32_dpp v76, v150, v76 quad_perm:[0,0,0,0] row_mask:0xf bank_mask:0xf// 000000006D54: 069898FA FF000096
	v_subrev_f32_dpp v77, v150, v77 quad_perm:[1,1,1,1] row_mask:0xf bank_mask:0xf// 000000006D5C: 069A9AFA FF005596
	v_mfma_f32_16x16x16_bf16 v[160:163], v[112:113], v[144:145], v[160:163]// 000000006D64: D3E100A0 06832170
	v_mul_f32_e32 v72, v48, v72                                // 000000006D6C: 0A909130
	v_mul_f32_e32 v73, v49, v73                                // 000000006D70: 0A929331
	v_mul_f32_e32 v74, v50, v74                                // 000000006D74: 0A949532
	v_mfma_f32_16x16x16_bf16 v[164:167], v[114:115], v[144:145], v[164:167]// 000000006D78: D3E100A4 06932172
	v_mul_f32_e32 v75, v51, v75                                // 000000006D80: 0A969733
	v_mul_f32_e32 v76, v52, v76                                // 000000006D84: 0A989934
	v_mul_f32_e32 v77, v53, v77                                // 000000006D88: 0A9A9B35
	v_mfma_f32_16x16x16_bf16 v[168:171], v[116:117], v[144:145], v[168:171]// 000000006D8C: D3E100A8 06A32174
	v_cmp_u_f32_e64 s[74:75], v72, v72                         // 000000006D94: D048004A 00029148
	v_add3_u32 v248, v72, v251, 1                              // 000000006D9C: D1FF00F8 0207F748
	v_cndmask_b32_e64 v28, v248, v250, s[74:75]                // 000000006DA4: D100001C 012BF5F8
	v_cmp_u_f32_e64 s[74:75], v73, v73                         // 000000006DAC: D048004A 00029349
	v_add3_u32 v248, v73, v251, 1                              // 000000006DB4: D1FF00F8 0207F749
	v_cndmask_b32_e64 v29, v248, v250, s[74:75]                // 000000006DBC: D100001D 012BF5F8
	v_perm_b32 v72, v29, v28, s64                              // 000000006DC4: D1ED0048 0102391D
	v_cmp_u_f32_e64 s[74:75], v74, v74                         // 000000006DCC: D048004A 0002954A
	v_add3_u32 v248, v74, v251, 1                              // 000000006DD4: D1FF00F8 0207F74A
	v_cndmask_b32_e64 v28, v248, v250, s[74:75]                // 000000006DDC: D100001C 012BF5F8
	v_cmp_u_f32_e64 s[74:75], v75, v75                         // 000000006DE4: D048004A 0002974B
	v_add3_u32 v248, v75, v251, 1                              // 000000006DEC: D1FF00F8 0207F74B
	v_cndmask_b32_e64 v29, v248, v250, s[74:75]                // 000000006DF4: D100001D 012BF5F8
	v_perm_b32 v73, v29, v28, s64                              // 000000006DFC: D1ED0049 0102391D
	v_cmp_u_f32_e64 s[74:75], v76, v76                         // 000000006E04: D048004A 0002994C
	v_add3_u32 v248, v76, v251, 1                              // 000000006E0C: D1FF00F8 0207F74C
	v_cndmask_b32_e64 v28, v248, v250, s[74:75]                // 000000006E14: D100001C 012BF5F8
	v_cmp_u_f32_e64 s[74:75], v77, v77                         // 000000006E1C: D048004A 00029B4D
	v_add3_u32 v248, v77, v251, 1                              // 000000006E24: D1FF00F8 0207F74D
	v_cndmask_b32_e64 v29, v248, v250, s[74:75]                // 000000006E2C: D100001D 012BF5F8
	v_perm_b32 v74, v29, v28, s64                              // 000000006E34: D1ED004A 0102391D
	v_mfma_f32_16x16x16_bf16 v[172:175], v[118:119], v[144:145], v[172:175]// 000000006E3C: D3E100AC 06B32176
	v_mov_b32_dpp v18, v72 quad_perm:[1,0,3,2] row_mask:0xf bank_mask:0xf// 000000006E44: 7E2402FA FF00B148
	v_perm_b32 v48, v18, v72, v17                              // 000000006E4C: D1ED0030 04469112
	v_mov_b32_dpp v18, v73 quad_perm:[1,0,3,2] row_mask:0xf bank_mask:0xf// 000000006E54: 7E2402FA FF00B149
	v_mfma_f32_16x16x16_bf16 v[176:179], v[120:121], v[144:145], v[176:179]// 000000006E5C: D3E100B0 06C32178
	v_perm_b32 v49, v18, v73, v17                              // 000000006E64: D1ED0031 04469312
	v_mov_b32_dpp v18, v74 quad_perm:[1,0,3,2] row_mask:0xf bank_mask:0xf// 000000006E6C: 7E2402FA FF00B14A
	v_perm_b32 v50, v18, v74, v17                              // 000000006E74: D1ED0032 04469512
	v_mfma_f32_16x16x16_bf16 v[180:183], v[122:123], v[144:145], v[180:183]// 000000006E7C: D3E100B4 06D3217A
	ds_write_b32 v20, v48 offset:17408                         // 000000006E84: D81A4400 00003014
	v_mfma_f32_16x16x16_bf16 v[184:187], v[108:109], v[146:147], v[184:187]// 000000006E8C: D3E100B8 06E3256C
	v_subrev_f32_dpp v78, v150, v78 quad_perm:[2,2,2,2] row_mask:0xf bank_mask:0xf// 000000006E94: 069C9CFA FF00AA96
	v_subrev_f32_dpp v79, v150, v79 quad_perm:[3,3,3,3] row_mask:0xf bank_mask:0xf// 000000006E9C: 069E9EFA FF00FF96
	v_subrev_f32_dpp v80, v150, v80 quad_perm:[0,0,0,0] row_mask:0xf bank_mask:0xf// 000000006EA4: 06A0A0FA FF000096
	v_mfma_f32_16x16x16_bf16 v[188:191], v[110:111], v[146:147], v[188:191]// 000000006EAC: D3E100BC 06F3256E
	ds_write_b32 v20, v49 offset:17952                         // 000000006EB4: D81A4620 00003114
	v_mfma_f32_16x16x16_bf16 v[192:195], v[112:113], v[146:147], v[192:195]// 000000006EBC: D3E100C0 07032570
	v_subrev_f32_dpp v81, v150, v81 quad_perm:[1,1,1,1] row_mask:0xf bank_mask:0xf// 000000006EC4: 06A2A2FA FF005596
	v_subrev_f32_dpp v82, v150, v82 quad_perm:[2,2,2,2] row_mask:0xf bank_mask:0xf// 000000006ECC: 06A4A4FA FF00AA96
	v_subrev_f32_dpp v83, v150, v83 quad_perm:[3,3,3,3] row_mask:0xf bank_mask:0xf// 000000006ED4: 06A6A6FA FF00FF96
	v_mfma_f32_16x16x16_bf16 v[196:199], v[114:115], v[146:147], v[196:199]// 000000006EDC: D3E100C4 07132572
	ds_write_b32 v20, v50 offset:19712                         // 000000006EE4: D81A4D00 00003214
	v_mfma_f32_16x16x16_bf16 v[200:203], v[116:117], v[146:147], v[200:203]// 000000006EEC: D3E100C8 07232574
	v_mul_f32_e32 v78, v54, v78                                // 000000006EF4: 0A9C9D36
	v_mul_f32_e32 v79, v55, v79                                // 000000006EF8: 0A9E9F37
	v_mul_f32_e32 v80, v56, v80                                // 000000006EFC: 0AA0A138
	v_mfma_f32_16x16x16_bf16 v[204:207], v[118:119], v[146:147], v[204:207]// 000000006F00: D3E100CC 07332576
	v_mul_f32_e32 v81, v57, v81                                // 000000006F08: 0AA2A339
	v_mul_f32_e32 v82, v58, v82                                // 000000006F0C: 0AA4A53A
	v_mul_f32_e32 v83, v59, v83                                // 000000006F10: 0AA6A73B
	v_mfma_f32_16x16x16_bf16 v[208:211], v[120:121], v[146:147], v[208:211]// 000000006F14: D3E100D0 07432578
	v_cmp_u_f32_e64 s[74:75], v78, v78                         // 000000006F1C: D048004A 00029D4E
	v_add3_u32 v248, v78, v251, 1                              // 000000006F24: D1FF00F8 0207F74E
	v_cndmask_b32_e64 v28, v248, v250, s[74:75]                // 000000006F2C: D100001C 012BF5F8
	v_cmp_u_f32_e64 s[74:75], v79, v79                         // 000000006F34: D048004A 00029F4F
	v_add3_u32 v248, v79, v251, 1                              // 000000006F3C: D1FF00F8 0207F74F
	v_cndmask_b32_e64 v29, v248, v250, s[74:75]                // 000000006F44: D100001D 012BF5F8
	v_perm_b32 v75, v29, v28, s64                              // 000000006F4C: D1ED004B 0102391D
	v_cmp_u_f32_e64 s[74:75], v80, v80                         // 000000006F54: D048004A 0002A150
	v_add3_u32 v248, v80, v251, 1                              // 000000006F5C: D1FF00F8 0207F750
	v_cndmask_b32_e64 v28, v248, v250, s[74:75]                // 000000006F64: D100001C 012BF5F8
	v_cmp_u_f32_e64 s[74:75], v81, v81                         // 000000006F6C: D048004A 0002A351
	v_add3_u32 v248, v81, v251, 1                              // 000000006F74: D1FF00F8 0207F751
	v_cndmask_b32_e64 v29, v248, v250, s[74:75]                // 000000006F7C: D100001D 012BF5F8
	v_perm_b32 v76, v29, v28, s64                              // 000000006F84: D1ED004C 0102391D
	v_cmp_u_f32_e64 s[74:75], v82, v82                         // 000000006F8C: D048004A 0002A552
	v_add3_u32 v248, v82, v251, 1                              // 000000006F94: D1FF00F8 0207F752
	v_cndmask_b32_e64 v28, v248, v250, s[74:75]                // 000000006F9C: D100001C 012BF5F8
	v_cmp_u_f32_e64 s[74:75], v83, v83                         // 000000006FA4: D048004A 0002A753
	v_add3_u32 v248, v83, v251, 1                              // 000000006FAC: D1FF00F8 0207F753
	v_cndmask_b32_e64 v29, v248, v250, s[74:75]                // 000000006FB4: D100001D 012BF5F8
	v_perm_b32 v77, v29, v28, s64                              // 000000006FBC: D1ED004D 0102391D
	v_mfma_f32_16x16x16_bf16 v[212:215], v[122:123], v[146:147], v[212:215]// 000000006FC4: D3E100D4 0753257A
	v_mov_b32_dpp v18, v75 quad_perm:[1,0,3,2] row_mask:0xf bank_mask:0xf// 000000006FCC: 7E2402FA FF00B14B
	v_perm_b32 v51, v18, v75, v17                              // 000000006FD4: D1ED0033 04469712
	v_mov_b32_dpp v18, v76 quad_perm:[1,0,3,2] row_mask:0xf bank_mask:0xf// 000000006FDC: 7E2402FA FF00B14C
	v_mfma_f32_16x16x16_bf16 v[216:219], v[108:109], v[148:149], v[216:219]// 000000006FE4: D3E100D8 0763296C
	v_perm_b32 v52, v18, v76, v17                              // 000000006FEC: D1ED0034 04469912
	v_mov_b32_dpp v18, v77 quad_perm:[1,0,3,2] row_mask:0xf bank_mask:0xf// 000000006FF4: 7E2402FA FF00B14D
	v_perm_b32 v53, v18, v77, v17                              // 000000006FFC: D1ED0035 04469B12
	v_mfma_f32_16x16x16_bf16 v[220:223], v[110:111], v[148:149], v[220:223]// 000000007004: D3E100DC 0773296E
	ds_write_b32 v20, v51 offset:20256                         // 00000000700C: D81A4F20 00003314
	v_mfma_f32_16x16x16_bf16 v[224:227], v[112:113], v[148:149], v[224:227]// 000000007014: D3E100E0 07832970
	v_mfma_f32_16x16x16_bf16 v[228:231], v[114:115], v[148:149], v[228:231]// 00000000701C: D3E100E4 07932972
	ds_write_b32 v20, v52 offset:22016                         // 000000007024: D81A5600 00003414
	ds_write_b32 v20, v53 offset:22560                         // 00000000702C: D81A5820 00003514
	v_mfma_f32_16x16x16_bf16 v[232:235], v[116:117], v[148:149], v[232:235]// 000000007034: D3E100E8 07A32974
	v_mfma_f32_16x16x16_bf16 v[236:239], v[118:119], v[148:149], v[236:239]// 00000000703C: D3E100EC 07B32976
	ds_write_b32 v15, v84 offset:4352                          // 000000007044: D81A1100 0000540F
	ds_write_b32 v15, v85 offset:5408                          // 00000000704C: D81A1520 0000550F
	v_mfma_f32_16x16x16_bf16 v[240:243], v[120:121], v[148:149], v[240:243]// 000000007054: D3E100F0 07C32978
	s_nop 0                                                    // 00000000705C: BF800000
	s_nop 0                                                    // 000000007060: BF800000
	s_nop 0                                                    // 000000007064: BF800000
	v_mfma_f32_16x16x16_bf16 v[244:247], v[122:123], v[148:149], v[244:247]// 000000007068: D3E100F4 07D3297A
	ds_write_b32 v15, v86 offset:4480                          // 000000007070: D81A1180 0000560F
	ds_write_b32 v15, v87 offset:5536                          // 000000007078: D81A15A0 0000570F
	s_barrier                                                  // 000000007080: BF8A0000
	v_mfma_f32_16x16x16_bf16 a[160:163], a[144:145], v[72:73], a[160:163]// 000000007084: D3E180A0 0E829190
	global_atomic_pk_add_bf16 v6, v136, s[32:33]               // 00000000708C: DD488000 00208806
	v_mfma_f32_16x16x16_bf16 a[164:167], a[146:147], v[72:73], a[164:167]// 000000007094: D3E180A4 0E929192
	ds_read_b32 v124, v23 offset:50688                         // 00000000709C: D86CC600 7C000017
	ds_read_b32 v150, v23 offset:50944                         // 0000000070A4: D86CC700 96000017
	v_mfma_f32_16x16x16_bf16 a[168:171], a[148:149], v[72:73], a[168:171]// 0000000070AC: D3E180A8 0EA29194
	s_waitcnt lgkmcnt(6)                                       // 0000000070B4: BF8CC67F
	s_barrier                                                  // 0000000070B8: BF8A0000
	v_mfma_f32_16x16x16_bf16 a[172:175], a[150:151], v[72:73], a[172:175]// 0000000070BC: D3E180AC 0EB29196
	ds_read_b128 v[48:51], v19 offset:17408                    // 0000000070C4: D9FE4400 30000013
	v_mfma_f32_16x16x16_bf16 a[176:179], a[152:153], v[72:73], a[176:179]// 0000000070CC: D3E180B0 0EC29198
	v_mfma_f32_16x16x16_bf16 a[180:183], a[154:155], v[72:73], a[180:183]// 0000000070D4: D3E180B4 0ED2919A
	ds_read_b128 v[52:55], v19 offset:18560                    // 0000000070DC: D9FE4880 34000013
	v_mfma_f32_16x16x16_bf16 a[184:187], a[156:157], v[72:73], a[184:187]// 0000000070E4: D3E180B8 0EE2919C
	global_atomic_pk_add_bf16 v8, v137, s[32:33]               // 0000000070EC: DD488000 00208908
	v_mfma_f32_16x16x16_bf16 a[188:191], a[158:159], v[72:73], a[188:191]// 0000000070F4: D3E180BC 0EF2919E
	ds_read_b128 v[56:59], v19 offset:19712                    // 0000000070FC: D9FE4D00 38000013
	v_mfma_f32_16x16x16_bf16 a[192:195], a[144:145], v[74:75], a[192:195]// 000000007104: D3E180C0 0F029590
	v_mfma_f32_16x16x16_bf16 a[196:199], a[146:147], v[74:75], a[196:199]// 00000000710C: D3E180C4 0F129592
	ds_read_b128 v[60:63], v19 offset:20864                    // 000000007114: D9FE5180 3C000013
	v_mfma_f32_16x16x16_bf16 a[200:203], a[148:149], v[74:75], a[200:203]// 00000000711C: D3E180C8 0F229594
	v_mfma_f32_16x16x16_bf16 a[204:207], a[150:151], v[74:75], a[204:207]// 000000007124: D3E180CC 0F329596
	ds_read_b128 v[64:67], v19 offset:22016                    // 00000000712C: D9FE5600 40000013
	v_mfma_f32_16x16x16_bf16 a[208:211], a[152:153], v[74:75], a[208:211]// 000000007134: D3E180D0 0F429598
	global_atomic_pk_add_bf16 v6, v138, s[32:33] offset:128    // 00000000713C: DD488080 00208A06
	v_mfma_f32_16x16x16_bf16 a[212:215], a[154:155], v[74:75], a[212:215]// 000000007144: D3E180D4 0F52959A
	ds_read_b128 v[68:71], v19 offset:23168                    // 00000000714C: D9FE5A80 44000013
	v_mfma_f32_16x16x16_bf16 a[216:219], a[156:157], v[74:75], a[216:219]// 000000007154: D3E180D8 0F62959C
	v_mfma_f32_16x16x16_bf16 a[220:223], a[158:159], v[74:75], a[220:223]// 00000000715C: D3E180DC 0F72959E
	ds_write_b32 v15, v88 offset:13056                         // 000000007164: D81A3300 0000580F
	v_mfma_f32_16x16x16_bf16 a[224:227], a[144:145], v[76:77], a[224:227]// 00000000716C: D3E180E0 0F829990
	v_mfma_f32_16x16x16_bf16 a[228:231], a[146:147], v[76:77], a[228:231]// 000000007174: D3E180E4 0F929992
	ds_write_b32 v15, v89 offset:14112                         // 00000000717C: D81A3720 0000590F
	v_mfma_f32_16x16x16_bf16 a[232:235], a[148:149], v[76:77], a[232:235]// 000000007184: D3E180E8 0FA29994
	global_atomic_pk_add_bf16 v8, v139, s[32:33] offset:128    // 00000000718C: DD488080 00208B08
	v_mfma_f32_16x16x16_bf16 a[236:239], a[150:151], v[76:77], a[236:239]// 000000007194: D3E180EC 0FB29996
	ds_write_b32 v15, v90 offset:13184                         // 00000000719C: D81A3380 00005A0F
	v_mfma_f32_16x16x16_bf16 a[240:243], a[152:153], v[76:77], a[240:243]// 0000000071A4: D3E180F0 0FC29998
	v_mfma_f32_16x16x16_bf16 a[244:247], a[154:155], v[76:77], a[244:247]// 0000000071AC: D3E180F4 0FD2999A
	ds_write_b32 v15, v91 offset:14240                         // 0000000071B4: D81A37A0 00005B0F
	v_mfma_f32_16x16x16_bf16 a[248:251], a[156:157], v[76:77], a[248:251]// 0000000071BC: D3E180F8 0FE2999C
	v_mfma_f32_16x16x16_bf16 a[252:255], a[158:159], v[76:77], a[252:255]// 0000000071C4: D3E180FC 0FF2999E
	s_waitcnt vmcnt(4) lgkmcnt(4)                              // 0000000071CC: BF8C0474
	s_barrier                                                  // 0000000071D0: BF8A0000
	v_mfma_f32_16x16x16_bf16 v[128:131], a[48:49], v[48:49], 0 // 0000000071D4: D3E10080 0A026130
	v_mul_f32_e32 v124, s49, v124                              // 0000000071DC: 0AF8F831
	s_nop 0                                                    // 0000000071E0: BF800000
	v_mfma_f32_16x16x16_bf16 v[128:131], a[52:53], v[50:51], v[128:131]// 0000000071E4: D3E10080 0E026534
	ds_read_b128 a[144:147], v12                               // 0000000071EC: DBFE0000 9000000C
	buffer_load_dword v32, v1, s[8:11], 0 idxen                // 0000000071F4: E0502000 80022001
	v_mfma_f32_16x16x16_bf16 v[128:131], a[56:57], v[52:53], v[128:131]// 0000000071FC: D3E10080 0E026938
	v_mfma_f32_16x16x16_bf16 v[128:131], a[60:61], v[54:55], v[128:131]// 000000007204: D3E10080 0E026D3C
	ds_read_b128 a[148:151], v12 offset:512                    // 00000000720C: DBFE0200 9400000C
	buffer_load_dword v33, v2, s[8:11], 0 idxen                // 000000007214: E0502000 80022102
	v_mfma_f32_16x16x16_bf16 v[128:131], a[64:65], v[56:57], v[128:131]// 00000000721C: D3E10080 0E027140
	v_perm_b32 v84, v37, v36, s63                              // 000000007224: D1ED0054 00FE4925
	v_perm_b32 v85, v37, v36, s64                              // 00000000722C: D1ED0055 01024925
	v_mfma_f32_16x16x16_bf16 v[128:131], a[68:69], v[58:59], v[128:131]// 000000007234: D3E10080 0E027544
	ds_read_b128 a[152:155], v12 offset:2176                   // 00000000723C: DBFE0880 9800000C
	buffer_load_dword v34, v3, s[8:11], 0 idxen                // 000000007244: E0502000 80022203
	v_mfma_f32_16x16x16_bf16 v[128:131], a[72:73], v[60:61], v[128:131]// 00000000724C: D3E10080 0E027948
	v_perm_b32 v86, v39, v38, s63                              // 000000007254: D1ED0056 00FE4D27
	v_perm_b32 v87, v39, v38, s64                              // 00000000725C: D1ED0057 01024D27
	v_mfma_f32_16x16x16_bf16 v[128:131], a[76:77], v[62:63], v[128:131]// 000000007264: D3E10080 0E027D4C
	ds_read_b128 a[156:159], v12 offset:2688                   // 00000000726C: DBFE0A80 9C00000C
	buffer_load_dword v35, v4, s[8:11], 0 idxen                // 000000007274: E0502000 80022304
	v_mfma_f32_16x16x16_bf16 v[128:131], a[80:81], v[64:65], v[128:131]// 00000000727C: D3E10080 0E028150
	v_perm_b32 v88, v45, v44, s63                              // 000000007284: D1ED0058 00FE592D
	v_perm_b32 v89, v45, v44, s64                              // 00000000728C: D1ED0059 0102592D
	v_mfma_f32_16x16x16_bf16 v[128:131], a[84:85], v[66:67], v[128:131]// 000000007294: D3E10080 0E028554
	ds_read_b128 v[92:95], v12 offset:8704                     // 00000000729C: D9FE2200 5C00000C
	buffer_load_dword v40, v1, s[20:23], 0 idxen               // 0000000072A4: E0502000 80052801
	v_mfma_f32_16x16x16_bf16 v[128:131], a[88:89], v[68:69], v[128:131]// 0000000072AC: D3E10080 0E028958
	v_perm_b32 v90, v47, v46, s63                              // 0000000072B4: D1ED005A 00FE5D2F
	v_perm_b32 v91, v47, v46, s64                              // 0000000072BC: D1ED005B 01025D2F
	v_mfma_f32_16x16x16_bf16 v[128:131], a[92:93], v[70:71], v[128:131]// 0000000072C4: D3E10080 0E028D5C
	ds_read_b128 v[96:99], v12 offset:9216                     // 0000000072CC: D9FE2400 6000000C
	buffer_load_dword v41, v2, s[20:23], 0 idxen               // 0000000072D4: E0502000 80052902
	v_mfma_f32_16x16x16_bf16 v[132:135], a[50:51], v[48:49], 0 // 0000000072DC: D3E10084 0A026132
	v_mov_b32_dpp v127, v124 quad_perm:[3,3,3,3] row_mask:0xf bank_mask:0xf// 0000000072E4: 7EFE02FA FF00FF7C
	v_mov_b32_dpp v126, v124 quad_perm:[2,2,2,2] row_mask:0xf bank_mask:0xf// 0000000072EC: 7EFC02FA FF00AA7C
	v_mfma_f32_16x16x16_bf16 v[132:135], a[54:55], v[50:51], v[132:135]// 0000000072F4: D3E10084 0E126536
	ds_read_b128 v[100:103], v12 offset:10880                  // 0000000072FC: D9FE2A80 6400000C
	buffer_load_dword v42, v3, s[20:23], 0 idxen               // 000000007304: E0502000 80052A03
	v_mfma_f32_16x16x16_bf16 v[132:135], a[58:59], v[52:53], v[132:135]// 00000000730C: D3E10084 0E12693A
	v_mov_b32_dpp v125, v124 quad_perm:[1,1,1,1] row_mask:0xf bank_mask:0xf// 000000007314: 7EFA02FA FF00557C
	v_mov_b32_dpp v124, v124 quad_perm:[0,0,0,0] row_mask:0xf bank_mask:0xf// 00000000731C: 7EF802FA FF00007C
	s_add_u32 s60, 64, s59                                     // 000000007324: 803C3BC0
	v_mfma_f32_16x16x16_bf16 v[132:135], a[62:63], v[54:55], v[132:135]// 000000007328: D3E10084 0E126D3E
	ds_read_b128 v[104:107], v12 offset:11392                  // 000000007330: D9FE2C80 6800000C
	buffer_load_dword v43, v4, s[20:23], 0 idxen               // 000000007338: E0502000 80052B04
	v_mfma_f32_16x16x16_bf16 v[132:135], a[66:67], v[56:57], v[132:135]// 000000007340: D3E10084 0E127142
	s_cmp_lt_u32 s60, s58                                      // 000000007348: BF0A3A3C
	s_cselect_b32 s68, s68, 0                                  // 00000000734C: 85448044
	s_cselect_b32 s69, s69, 0                                  // 000000007350: 85458045
	v_mfma_f32_16x16x16_bf16 v[132:135], a[70:71], v[58:59], v[132:135]// 000000007354: D3E10084 0E127546
	buffer_load_dword v11, s[24:27], 0 idxen lds               // 00000000735C: E0512000 8006000B
	v_mfma_f32_16x16x16_bf16 v[132:135], a[74:75], v[60:61], v[132:135]// 000000007364: D3E10084 0E12794A
	s_add_u32 s8, s68, s8                                      // 00000000736C: 80080844
	s_addc_u32 s9, 0, s9                                       // 000000007370: 82090980
	v_mfma_f32_16x16x16_bf16 v[132:135], a[78:79], v[62:63], v[132:135]// 000000007374: D3E10084 0E127D4E
	s_add_u32 s20, s68, s20                                    // 00000000737C: 80141444
	s_addc_u32 s21, 0, s21                                     // 000000007380: 82151580
	v_mfma_f32_16x16x16_bf16 v[132:135], a[82:83], v[64:65], v[132:135]// 000000007384: D3E10084 0E128152
	s_mov_b32 m0, s77                                          // 00000000738C: BEFC004D
	v_add_u32_e32 v11, s69, v11                                // 000000007390: 68161645
	v_mfma_f32_16x16x16_bf16 v[132:135], a[86:87], v[66:67], v[132:135]// 000000007394: D3E10084 0E128556
	s_cmp_ge_u32 s59, 16                                       // 00000000739C: BF09903B
	s_cselect_b32 s66, s67, s66                                // 0000000073A0: 85424243
	v_mfma_f32_16x16x16_bf16 v[132:135], a[90:91], v[68:69], v[132:135]// 0000000073A4: D3E10084 0E12895A
	s_addk_i32 s59, 0x10                                       // 0000000073AC: B73B0010
	s_nop 0                                                    // 0000000073B0: BF800000
	s_cmp_lt_i32 s59, s58                                      // 0000000073B4: BF043A3B
	v_mfma_f32_16x16x16_bf16 v[132:135], a[94:95], v[70:71], v[132:135]// 0000000073B8: D3E10084 0E128D5E
	s_cbranch_scc0 label_0D72                                  // 0000000073C0: BF840001
	s_branch label_0767                                        // 0000000073C4: BF82F9F5

00000000000073c8 <label_0D72>:
	s_nop 0                                                    // 0000000073C8: BF800000
	s_nop 0                                                    // 0000000073CC: BF800000
	s_branch label_1380                                        // 0000000073D0: BF82060B

00000000000073d4 <label_0D75>:
	s_waitcnt lgkmcnt(4)                                       // 0000000073D4: BF8CC47F
	s_barrier                                                  // 0000000073D8: BF8A0000
	v_mfma_f32_16x16x16_bf16 v[48:51], a[144:145], a[0:1], 0   // 0000000073DC: D3E10030 1A020190
	v_mul_f32_e32 v128, s48, v128                              // 0000000073E4: 0B010030
	v_mul_f32_e32 v129, s48, v129                              // 0000000073E8: 0B030230
	v_mfma_f32_16x16x16_bf16 v[48:51], a[146:147], a[2:3], v[48:51]// 0000000073EC: D3E10030 1CC20592
	ds_write_b32 v13, v44 offset:8704                          // 0000000073F4: D81A2200 00002C0D
	ds_write_b32 v13, v45 offset:9760                          // 0000000073FC: D81A2620 00002D0D
	v_mfma_f32_16x16x16_bf16 v[48:51], a[148:149], a[4:5], v[48:51]// 000000007404: D3E10030 1CC20994
	v_mul_f32_e32 v130, s48, v130                              // 00000000740C: 0B050430
	v_mul_f32_e32 v131, s48, v131                              // 000000007410: 0B070630
	v_mfma_f32_16x16x16_bf16 v[48:51], a[150:151], a[6:7], v[48:51]// 000000007414: D3E10030 1CC20D96
	ds_write_b32 v13, v46 offset:8832                          // 00000000741C: D81A2280 00002E0D
	ds_write_b32 v13, v47 offset:9888                          // 000000007424: D81A26A0 00002F0D
	v_mfma_f32_16x16x16_bf16 v[48:51], a[152:153], a[8:9], v[48:51]// 00000000742C: D3E10030 1CC21198
	v_mul_f32_e32 v132, s48, v132                              // 000000007434: 0B090830
	v_mul_f32_e32 v133, s48, v133                              // 000000007438: 0B0B0A30
	v_mfma_f32_16x16x16_bf16 v[48:51], a[154:155], a[10:11], v[48:51]// 00000000743C: D3E10030 1CC2159A
	v_mul_f32_e32 v134, s48, v134                              // 000000007444: 0B0D0C30
	v_mul_f32_e32 v135, s48, v135                              // 000000007448: 0B0F0E30
	v_mfma_f32_16x16x16_bf16 v[48:51], a[156:157], a[12:13], v[48:51]// 00000000744C: D3E10030 1CC2199C
	v_cmp_u_f32_e64 s[74:75], v128, v128                       // 000000007454: D048004A 00030180
	v_add3_u32 v248, v128, v251, 1                             // 00000000745C: D1FF00F8 0207F780
	v_cndmask_b32_e64 v28, v248, v250, s[74:75]                // 000000007464: D100001C 012BF5F8
	v_cmp_u_f32_e64 s[74:75], v129, v129                       // 00000000746C: D048004A 00030381
	v_add3_u32 v248, v129, v251, 1                             // 000000007474: D1FF00F8 0207F781
	v_cndmask_b32_e64 v29, v248, v250, s[74:75]                // 00000000747C: D100001D 012BF5F8
	v_perm_b32 v128, v29, v28, s64                             // 000000007484: D1ED0080 0102391D
	v_cmp_u_f32_e64 s[74:75], v130, v130                       // 00000000748C: D048004A 00030582
	v_add3_u32 v248, v130, v251, 1                             // 000000007494: D1FF00F8 0207F782
	v_cndmask_b32_e64 v28, v248, v250, s[74:75]                // 00000000749C: D100001C 012BF5F8
	v_cmp_u_f32_e64 s[74:75], v131, v131                       // 0000000074A4: D048004A 00030783
	v_add3_u32 v248, v131, v251, 1                             // 0000000074AC: D1FF00F8 0207F783
	v_cndmask_b32_e64 v29, v248, v250, s[74:75]                // 0000000074B4: D100001D 012BF5F8
	v_perm_b32 v129, v29, v28, s64                             // 0000000074BC: D1ED0081 0102391D
	v_mfma_f32_16x16x16_bf16 v[48:51], a[158:159], a[14:15], v[48:51]// 0000000074C4: D3E10030 1CC21D9E
	v_cmp_u_f32_e64 s[74:75], v132, v132                       // 0000000074CC: D048004A 00030984
	v_add3_u32 v248, v132, v251, 1                             // 0000000074D4: D1FF00F8 0207F784
	v_cndmask_b32_e64 v28, v248, v250, s[74:75]                // 0000000074DC: D100001C 012BF5F8
	v_cmp_u_f32_e64 s[74:75], v133, v133                       // 0000000074E4: D048004A 00030B85
	v_add3_u32 v248, v133, v251, 1                             // 0000000074EC: D1FF00F8 0207F785
	v_cndmask_b32_e64 v29, v248, v250, s[74:75]                // 0000000074F4: D100001D 012BF5F8
	v_perm_b32 v130, v29, v28, s64                             // 0000000074FC: D1ED0082 0102391D
	v_cmp_u_f32_e64 s[74:75], v134, v134                       // 000000007504: D048004A 00030D86
	v_add3_u32 v248, v134, v251, 1                             // 00000000750C: D1FF00F8 0207F786
	v_cndmask_b32_e64 v28, v248, v250, s[74:75]                // 000000007514: D100001C 012BF5F8
	v_cmp_u_f32_e64 s[74:75], v135, v135                       // 00000000751C: D048004A 00030F87
	v_add3_u32 v248, v135, v251, 1                             // 000000007524: D1FF00F8 0207F787
	v_cndmask_b32_e64 v29, v248, v250, s[74:75]                // 00000000752C: D100001D 012BF5F8
	v_perm_b32 v131, v29, v28, s64                             // 000000007534: D1ED0083 0102391D
	v_mfma_f32_16x16x16_bf16 v[52:55], a[144:145], a[16:17], 0 // 00000000753C: D3E10034 1A022190
	v_mfma_f32_16x16x16_bf16 v[52:55], a[146:147], a[18:19], v[52:55]// 000000007544: D3E10034 1CD22592
	ds_write_b64 v22, v[128:129] offset:24320                  // 00000000754C: D89A5F00 00008016
	v_mfma_f32_16x16x16_bf16 v[52:55], a[148:149], a[20:21], v[52:55]// 000000007554: D3E10034 1CD22994
	v_mfma_f32_16x16x16_bf16 v[52:55], a[150:151], a[22:23], v[52:55]// 00000000755C: D3E10034 1CD22D96
	ds_write_b64 v22, v[130:131] offset:24864                  // 000000007564: D89A6120 00008216
	v_mfma_f32_16x16x16_bf16 v[52:55], a[152:153], a[24:25], v[52:55]// 00000000756C: D3E10034 1CD23198
	v_mfma_f32_16x16x16_bf16 v[52:55], a[154:155], a[26:27], v[52:55]// 000000007574: D3E10034 1CD2359A
	ds_read_b128 v[108:111], v14 offset:13056                  // 00000000757C: D9FE3300 6C00000E
	ds_write_b32 v13, v36                                      // 000000007584: D81A0000 0000240D
	v_mfma_f32_16x16x16_bf16 v[52:55], a[156:157], a[28:29], v[52:55]// 00000000758C: D3E10034 1CD2399C
	v_mfma_f32_16x16x16_bf16 v[52:55], a[158:159], a[30:31], v[52:55]// 000000007594: D3E10034 1CD23D9E
	v_mfma_f32_16x16x16_bf16 v[56:59], a[144:145], a[32:33], 0 // 00000000759C: D3E10038 1A024190
	ds_read_b128 v[112:115], v14 offset:13568                  // 0000000075A4: D9FE3500 7000000E
	ds_write_b32 v13, v37 offset:1056                          // 0000000075AC: D81A0420 0000250D
	v_mfma_f32_16x16x16_bf16 v[56:59], a[146:147], a[34:35], v[56:59]// 0000000075B4: D3E10038 1CE24592
	v_mfma_f32_16x16x16_bf16 v[56:59], a[148:149], a[36:37], v[56:59]// 0000000075BC: D3E10038 1CE24994
	v_mfma_f32_16x16x16_bf16 v[56:59], a[150:151], a[38:39], v[56:59]// 0000000075C4: D3E10038 1CE24D96
	ds_read_b128 v[116:119], v14 offset:15232                  // 0000000075CC: D9FE3B80 7400000E
	ds_write_b32 v13, v38 offset:128                           // 0000000075D4: D81A0080 0000260D
	v_mfma_f32_16x16x16_bf16 v[56:59], a[152:153], a[40:41], v[56:59]// 0000000075DC: D3E10038 1CE25198
	v_mfma_f32_16x16x16_bf16 v[56:59], a[154:155], a[42:43], v[56:59]// 0000000075E4: D3E10038 1CE2559A
	v_mfma_f32_16x16x16_bf16 v[56:59], a[156:157], a[44:45], v[56:59]// 0000000075EC: D3E10038 1CE2599C
	ds_read_b128 v[120:123], v14 offset:15744                  // 0000000075F4: D9FE3D80 7800000E
	ds_write_b32 v13, v39 offset:1184                          // 0000000075FC: D81A04A0 0000270D
	v_mfma_f32_16x16x16_bf16 v[56:59], a[158:159], a[46:47], v[56:59]// 000000007604: D3E10038 1CE25D9E
	s_cmp_lt_i32 s73, 3                                        // 00000000760C: BF048349
	s_cbranch_scc0 label_0E14                                  // 000000007610: BF84000F
	s_cmp_eq_i32 s73, 1                                        // 000000007614: BF008149
	s_cbranch_scc1 label_0E0A                                  // 000000007618: BF850003
	s_cmp_eq_i32 s73, 2                                        // 00000000761C: BF008249
	s_cbranch_scc1 label_0E0F                                  // 000000007620: BF850006
	s_branch label_0E14                                        // 000000007624: BF82000A

0000000000007628 <label_0E0A>:
	v_mov_b32_e32 v52, v151                                    // 000000007628: 7E680397
	v_mov_b32_e32 v53, v151                                    // 00000000762C: 7E6A0397
	v_mov_b32_e32 v54, v151                                    // 000000007630: 7E6C0397
	v_mov_b32_e32 v55, v151                                    // 000000007634: 7E6E0397
	s_branch label_0E0F                                        // 000000007638: BF820000

000000000000763c <label_0E0F>:
	v_mov_b32_e32 v56, v151                                    // 00000000763C: 7E700397
	v_mov_b32_e32 v57, v151                                    // 000000007640: 7E720397
	v_mov_b32_e32 v58, v151                                    // 000000007644: 7E740397
	v_mov_b32_e32 v59, v151                                    // 000000007648: 7E760397
	s_branch label_0E14                                        // 00000000764C: BF820000

0000000000007650 <label_0E14>:
	s_waitcnt lgkmcnt(8)                                       // 000000007650: BF8CC87F
	s_barrier                                                  // 000000007654: BF8A0000
	v_mfma_f32_16x16x16_bf16 v[72:75], v[92:93], a[96:97], 0   // 000000007658: D3E10048 1202C15C
	v_fma_f32 v48, v48, s57, -v124                             // 000000007660: D1CB0030 85F07330
	v_fma_f32 v49, v49, s57, -v125                             // 000000007668: D1CB0031 85F47331
	v_fma_f32 v50, v50, s57, -v126                             // 000000007670: D1CB0032 85F87332
	v_mfma_f32_16x16x16_bf16 v[72:75], v[94:95], a[98:99], v[72:75]// 000000007678: D3E10048 1522C55E
	ds_read_b128 a[144:147], v14 offset:4352                   // 000000007680: DBFE1100 9000000E
	ds_read_b128 a[148:151], v14 offset:4864                   // 000000007688: DBFE1300 9400000E
	v_mfma_f32_16x16x16_bf16 v[72:75], v[96:97], a[100:101], v[72:75]// 000000007690: D3E10048 1522C960
	v_fma_f32 v51, v51, s57, -v127                             // 000000007698: D1CB0033 85FC7333
	v_fma_f32 v52, v52, s57, -v124                             // 0000000076A0: D1CB0034 85F07334
	v_fma_f32 v53, v53, s57, -v125                             // 0000000076A8: D1CB0035 85F47335
	v_mfma_f32_16x16x16_bf16 v[72:75], v[98:99], a[102:103], v[72:75]// 0000000076B0: D3E10048 1522CD62
	v_fma_f32 v54, v54, s57, -v126                             // 0000000076B8: D1CB0036 85F87336
	v_fma_f32 v55, v55, s57, -v127                             // 0000000076C0: D1CB0037 85FC7337
	v_fma_f32 v56, v56, s57, -v124                             // 0000000076C8: D1CB0038 85F07338
	v_mfma_f32_16x16x16_bf16 v[72:75], v[100:101], a[104:105], v[72:75]// 0000000076D0: D3E10048 1522D164
	v_fma_f32 v57, v57, s57, -v125                             // 0000000076D8: D1CB0039 85F47339
	v_fma_f32 v58, v58, s57, -v126                             // 0000000076E0: D1CB003A 85F8733A
	v_fma_f32 v59, v59, s57, -v127                             // 0000000076E8: D1CB003B 85FC733B
	v_mfma_f32_16x16x16_bf16 v[72:75], v[102:103], a[106:107], v[72:75]// 0000000076F0: D3E10048 1522D566
	ds_read_b128 a[152:155], v14 offset:6528                   // 0000000076F8: DBFE1980 9800000E
	ds_read_b128 a[156:159], v14 offset:7040                   // 000000007700: DBFE1B80 9C00000E
	v_mfma_f32_16x16x16_bf16 v[72:75], v[104:105], a[108:109], v[72:75]// 000000007708: D3E10048 1522D968
	v_exp_f32_e32 v48, v48                                     // 000000007710: 7E604130
	v_mfma_f32_16x16x16_bf16 v[72:75], v[106:107], a[110:111], v[72:75]// 000000007714: D3E10048 1522DD6A
	v_exp_f32_e32 v49, v49                                     // 00000000771C: 7E624131
	v_mfma_f32_16x16x16_bf16 v[76:79], v[92:93], a[112:113], 0 // 000000007720: D3E1004C 1202E15C
	v_exp_f32_e32 v50, v50                                     // 000000007728: 7E644132
	v_mfma_f32_16x16x16_bf16 v[76:79], v[94:95], a[114:115], v[76:79]// 00000000772C: D3E1004C 1532E55E
	ds_read_b32 v136, v21 offset:24320                         // 000000007734: D86C5F00 88000015
	ds_read_b32 v137, v21 offset:24336                         // 00000000773C: D86C5F10 89000015
	v_mfma_f32_16x16x16_bf16 v[76:79], v[96:97], a[116:117], v[76:79]// 000000007744: D3E1004C 1532E960
	v_exp_f32_e32 v51, v51                                     // 00000000774C: 7E664133
	v_mfma_f32_16x16x16_bf16 v[76:79], v[98:99], a[118:119], v[76:79]// 000000007750: D3E1004C 1532ED62
	ds_read_b32 v138, v21 offset:26496                         // 000000007758: D86C6780 8A000015
	ds_read_b32 v139, v21 offset:26512                         // 000000007760: D86C6790 8B000015
	v_mfma_f32_16x16x16_bf16 v[76:79], v[100:101], a[120:121], v[76:79]// 000000007768: D3E1004C 1532F164
	v_exp_f32_e32 v52, v52                                     // 000000007770: 7E684134
	v_mfma_f32_16x16x16_bf16 v[76:79], v[102:103], a[122:123], v[76:79]// 000000007774: D3E1004C 1532F566
	v_exp_f32_e32 v53, v53                                     // 00000000777C: 7E6A4135
	v_mfma_f32_16x16x16_bf16 v[76:79], v[104:105], a[124:125], v[76:79]// 000000007780: D3E1004C 1532F968
	v_exp_f32_e32 v54, v54                                     // 000000007788: 7E6C4136
	v_mfma_f32_16x16x16_bf16 v[76:79], v[106:107], a[126:127], v[76:79]// 00000000778C: D3E1004C 1532FD6A
	v_exp_f32_e32 v55, v55                                     // 000000007794: 7E6E4137
	v_mfma_f32_16x16x16_bf16 v[80:83], v[92:93], a[128:129], 0 // 000000007798: D3E10050 1203015C
	v_exp_f32_e32 v56, v56                                     // 0000000077A0: 7E704138
	v_mfma_f32_16x16x16_bf16 v[80:83], v[94:95], a[130:131], v[80:83]// 0000000077A4: D3E10050 1543055E
	v_exp_f32_e32 v57, v57                                     // 0000000077AC: 7E724139
	v_mfma_f32_16x16x16_bf16 v[80:83], v[96:97], a[132:133], v[80:83]// 0000000077B0: D3E10050 15430960
	v_exp_f32_e32 v58, v58                                     // 0000000077B8: 7E74413A
	v_mfma_f32_16x16x16_bf16 v[80:83], v[98:99], a[134:135], v[80:83]// 0000000077BC: D3E10050 15430D62
	v_exp_f32_e32 v59, v59                                     // 0000000077C4: 7E76413B
	v_mfma_f32_16x16x16_bf16 v[80:83], v[100:101], a[136:137], v[80:83]// 0000000077C8: D3E10050 15431164
	v_cmp_u_f32_e64 s[74:75], v48, v48                         // 0000000077D0: D048004A 00026130
	v_add3_u32 v248, v48, v251, 1                              // 0000000077D8: D1FF00F8 0207F730
	v_cndmask_b32_e64 v28, v248, v250, s[74:75]                // 0000000077E0: D100001C 012BF5F8
	v_cmp_u_f32_e64 s[74:75], v49, v49                         // 0000000077E8: D048004A 00026331
	v_add3_u32 v248, v49, v251, 1                              // 0000000077F0: D1FF00F8 0207F731
	v_cndmask_b32_e64 v29, v248, v250, s[74:75]                // 0000000077F8: D100001D 012BF5F8
	v_perm_b32 v144, v29, v28, s64                             // 000000007800: D1ED0090 0102391D
	v_cmp_u_f32_e64 s[74:75], v50, v50                         // 000000007808: D048004A 00026532
	v_add3_u32 v248, v50, v251, 1                              // 000000007810: D1FF00F8 0207F732
	v_cndmask_b32_e64 v28, v248, v250, s[74:75]                // 000000007818: D100001C 012BF5F8
	v_cmp_u_f32_e64 s[74:75], v51, v51                         // 000000007820: D048004A 00026733
	v_add3_u32 v248, v51, v251, 1                              // 000000007828: D1FF00F8 0207F733
	v_cndmask_b32_e64 v29, v248, v250, s[74:75]                // 000000007830: D100001D 012BF5F8
	v_perm_b32 v145, v29, v28, s64                             // 000000007838: D1ED0091 0102391D
	v_cmp_u_f32_e64 s[74:75], v52, v52                         // 000000007840: D048004A 00026934
	v_add3_u32 v248, v52, v251, 1                              // 000000007848: D1FF00F8 0207F734
	v_cndmask_b32_e64 v28, v248, v250, s[74:75]                // 000000007850: D100001C 012BF5F8
	v_cmp_u_f32_e64 s[74:75], v53, v53                         // 000000007858: D048004A 00026B35
	v_add3_u32 v248, v53, v251, 1                              // 000000007860: D1FF00F8 0207F735
	v_cndmask_b32_e64 v29, v248, v250, s[74:75]                // 000000007868: D100001D 012BF5F8
	v_perm_b32 v146, v29, v28, s64                             // 000000007870: D1ED0092 0102391D
	v_mfma_f32_16x16x16_bf16 v[80:83], v[102:103], a[138:139], v[80:83]// 000000007878: D3E10050 15431566
	v_cmp_u_f32_e64 s[74:75], v54, v54                         // 000000007880: D048004A 00026D36
	v_add3_u32 v248, v54, v251, 1                              // 000000007888: D1FF00F8 0207F736
	v_cndmask_b32_e64 v28, v248, v250, s[74:75]                // 000000007890: D100001C 012BF5F8
	v_cmp_u_f32_e64 s[74:75], v55, v55                         // 000000007898: D048004A 00026F37
	v_add3_u32 v248, v55, v251, 1                              // 0000000078A0: D1FF00F8 0207F737
	v_cndmask_b32_e64 v29, v248, v250, s[74:75]                // 0000000078A8: D100001D 012BF5F8
	v_perm_b32 v147, v29, v28, s64                             // 0000000078B0: D1ED0093 0102391D
	v_cmp_u_f32_e64 s[74:75], v56, v56                         // 0000000078B8: D048004A 00027138
	v_add3_u32 v248, v56, v251, 1                              // 0000000078C0: D1FF00F8 0207F738
	v_cndmask_b32_e64 v28, v248, v250, s[74:75]                // 0000000078C8: D100001C 012BF5F8
	v_cmp_u_f32_e64 s[74:75], v57, v57                         // 0000000078D0: D048004A 00027339
	v_add3_u32 v248, v57, v251, 1                              // 0000000078D8: D1FF00F8 0207F739
	v_cndmask_b32_e64 v29, v248, v250, s[74:75]                // 0000000078E0: D100001D 012BF5F8
	v_perm_b32 v148, v29, v28, s64                             // 0000000078E8: D1ED0094 0102391D
	v_cmp_u_f32_e64 s[74:75], v58, v58                         // 0000000078F0: D048004A 0002753A
	v_add3_u32 v248, v58, v251, 1                              // 0000000078F8: D1FF00F8 0207F73A
	v_cndmask_b32_e64 v28, v248, v250, s[74:75]                // 000000007900: D100001C 012BF5F8
	v_cmp_u_f32_e64 s[74:75], v59, v59                         // 000000007908: D048004A 0002773B
	v_add3_u32 v248, v59, v251, 1                              // 000000007910: D1FF00F8 0207F73B
	v_cndmask_b32_e64 v29, v248, v250, s[74:75]                // 000000007918: D100001D 012BF5F8
	v_perm_b32 v149, v29, v28, s64                             // 000000007920: D1ED0095 0102391D
	v_mfma_f32_16x16x16_bf16 v[80:83], v[104:105], a[140:141], v[80:83]// 000000007928: D3E10050 15431968
	s_add_u32 s32, s66, s32                                    // 000000007930: 80202042
	s_addc_u32 s33, 0, s33                                     // 000000007934: 82212180
	v_mfma_f32_16x16x16_bf16 v[80:83], v[106:107], a[142:143], v[80:83]// 000000007938: D3E10050 15431D6A
	s_waitcnt lgkmcnt(0)                                       // 000000007940: BF8CC07F
	s_barrier                                                  // 000000007944: BF8A0000
	v_mfma_f32_16x16x16_bf16 v[152:155], v[108:109], v[144:145], v[152:155]// 000000007948: D3E10098 0663216C
	v_subrev_f32_dpp v72, v150, v72 quad_perm:[0,0,0,0] row_mask:0xf bank_mask:0xf// 000000007950: 069090FA FF000096
	v_subrev_f32_dpp v73, v150, v73 quad_perm:[1,1,1,1] row_mask:0xf bank_mask:0xf// 000000007958: 069292FA FF005596
	v_subrev_f32_dpp v74, v150, v74 quad_perm:[2,2,2,2] row_mask:0xf bank_mask:0xf// 000000007960: 069494FA FF00AA96
	v_mfma_f32_16x16x16_bf16 v[156:159], v[110:111], v[144:145], v[156:159]// 000000007968: D3E1009C 0673216E
	v_subrev_f32_dpp v75, v150, v75 quad_perm:[3,3,3,3] row_mask:0xf bank_mask:0xf// 000000007970: 069696FA FF00FF96
	v_subrev_f32_dpp v76, v150, v76 quad_perm:[0,0,0,0] row_mask:0xf bank_mask:0xf// 000000007978: 069898FA FF000096
	v_subrev_f32_dpp v77, v150, v77 quad_perm:[1,1,1,1] row_mask:0xf bank_mask:0xf// 000000007980: 069A9AFA FF005596
	v_mfma_f32_16x16x16_bf16 v[160:163], v[112:113], v[144:145], v[160:163]// 000000007988: D3E100A0 06832170
	v_mul_f32_e32 v72, v48, v72                                // 000000007990: 0A909130
	v_mul_f32_e32 v73, v49, v73                                // 000000007994: 0A929331
	v_mul_f32_e32 v74, v50, v74                                // 000000007998: 0A949532
	v_mfma_f32_16x16x16_bf16 v[164:167], v[114:115], v[144:145], v[164:167]// 00000000799C: D3E100A4 06932172
	v_mul_f32_e32 v75, v51, v75                                // 0000000079A4: 0A969733
	v_mul_f32_e32 v76, v52, v76                                // 0000000079A8: 0A989934
	v_mul_f32_e32 v77, v53, v77                                // 0000000079AC: 0A9A9B35
	v_mfma_f32_16x16x16_bf16 v[168:171], v[116:117], v[144:145], v[168:171]// 0000000079B0: D3E100A8 06A32174
	v_cmp_u_f32_e64 s[74:75], v72, v72                         // 0000000079B8: D048004A 00029148
	v_add3_u32 v248, v72, v251, 1                              // 0000000079C0: D1FF00F8 0207F748
	v_cndmask_b32_e64 v28, v248, v250, s[74:75]                // 0000000079C8: D100001C 012BF5F8
	v_cmp_u_f32_e64 s[74:75], v73, v73                         // 0000000079D0: D048004A 00029349
	v_add3_u32 v248, v73, v251, 1                              // 0000000079D8: D1FF00F8 0207F749
	v_cndmask_b32_e64 v29, v248, v250, s[74:75]                // 0000000079E0: D100001D 012BF5F8
	v_perm_b32 v72, v29, v28, s64                              // 0000000079E8: D1ED0048 0102391D
	v_cmp_u_f32_e64 s[74:75], v74, v74                         // 0000000079F0: D048004A 0002954A
	v_add3_u32 v248, v74, v251, 1                              // 0000000079F8: D1FF00F8 0207F74A
	v_cndmask_b32_e64 v28, v248, v250, s[74:75]                // 000000007A00: D100001C 012BF5F8
	v_cmp_u_f32_e64 s[74:75], v75, v75                         // 000000007A08: D048004A 0002974B
	v_add3_u32 v248, v75, v251, 1                              // 000000007A10: D1FF00F8 0207F74B
	v_cndmask_b32_e64 v29, v248, v250, s[74:75]                // 000000007A18: D100001D 012BF5F8
	v_perm_b32 v73, v29, v28, s64                              // 000000007A20: D1ED0049 0102391D
	v_cmp_u_f32_e64 s[74:75], v76, v76                         // 000000007A28: D048004A 0002994C
	v_add3_u32 v248, v76, v251, 1                              // 000000007A30: D1FF00F8 0207F74C
	v_cndmask_b32_e64 v28, v248, v250, s[74:75]                // 000000007A38: D100001C 012BF5F8
	v_cmp_u_f32_e64 s[74:75], v77, v77                         // 000000007A40: D048004A 00029B4D
	v_add3_u32 v248, v77, v251, 1                              // 000000007A48: D1FF00F8 0207F74D
	v_cndmask_b32_e64 v29, v248, v250, s[74:75]                // 000000007A50: D100001D 012BF5F8
	v_perm_b32 v74, v29, v28, s64                              // 000000007A58: D1ED004A 0102391D
	v_mfma_f32_16x16x16_bf16 v[172:175], v[118:119], v[144:145], v[172:175]// 000000007A60: D3E100AC 06B32176
	v_mov_b32_dpp v18, v72 quad_perm:[1,0,3,2] row_mask:0xf bank_mask:0xf// 000000007A68: 7E2402FA FF00B148
	v_perm_b32 v48, v18, v72, v17                              // 000000007A70: D1ED0030 04469112
	v_mov_b32_dpp v18, v73 quad_perm:[1,0,3,2] row_mask:0xf bank_mask:0xf// 000000007A78: 7E2402FA FF00B149
	v_mfma_f32_16x16x16_bf16 v[176:179], v[120:121], v[144:145], v[176:179]// 000000007A80: D3E100B0 06C32178
	ds_write_b32 v20, v48 offset:17408                         // 000000007A88: D81A4400 00003014
	v_mfma_f32_16x16x16_bf16 v[180:183], v[122:123], v[144:145], v[180:183]// 000000007A90: D3E100B4 06D3217A
	v_perm_b32 v49, v18, v73, v17                              // 000000007A98: D1ED0031 04469312
	v_mov_b32_dpp v18, v74 quad_perm:[1,0,3,2] row_mask:0xf bank_mask:0xf// 000000007AA0: 7E2402FA FF00B14A
	v_perm_b32 v50, v18, v74, v17                              // 000000007AA8: D1ED0032 04469512
	v_mfma_f32_16x16x16_bf16 v[184:187], v[108:109], v[146:147], v[184:187]// 000000007AB0: D3E100B8 06E3256C
	ds_write_b32 v20, v49 offset:17952                         // 000000007AB8: D81A4620 00003114
	v_mfma_f32_16x16x16_bf16 v[188:191], v[110:111], v[146:147], v[188:191]// 000000007AC0: D3E100BC 06F3256E
	v_subrev_f32_dpp v78, v150, v78 quad_perm:[2,2,2,2] row_mask:0xf bank_mask:0xf// 000000007AC8: 069C9CFA FF00AA96
	v_subrev_f32_dpp v79, v150, v79 quad_perm:[3,3,3,3] row_mask:0xf bank_mask:0xf// 000000007AD0: 069E9EFA FF00FF96
	v_subrev_f32_dpp v80, v150, v80 quad_perm:[0,0,0,0] row_mask:0xf bank_mask:0xf// 000000007AD8: 06A0A0FA FF000096
	v_mfma_f32_16x16x16_bf16 v[192:195], v[112:113], v[146:147], v[192:195]// 000000007AE0: D3E100C0 07032570
	ds_write_b32 v20, v50 offset:19712                         // 000000007AE8: D81A4D00 00003214
	v_mfma_f32_16x16x16_bf16 v[196:199], v[114:115], v[146:147], v[196:199]// 000000007AF0: D3E100C4 07132572
	v_subrev_f32_dpp v81, v150, v81 quad_perm:[1,1,1,1] row_mask:0xf bank_mask:0xf// 000000007AF8: 06A2A2FA FF005596
	v_subrev_f32_dpp v82, v150, v82 quad_perm:[2,2,2,2] row_mask:0xf bank_mask:0xf// 000000007B00: 06A4A4FA FF00AA96
	v_subrev_f32_dpp v83, v150, v83 quad_perm:[3,3,3,3] row_mask:0xf bank_mask:0xf// 000000007B08: 06A6A6FA FF00FF96
	v_mfma_f32_16x16x16_bf16 v[200:203], v[116:117], v[146:147], v[200:203]// 000000007B10: D3E100C8 07232574
	v_mul_f32_e32 v78, v54, v78                                // 000000007B18: 0A9C9D36
	v_mul_f32_e32 v79, v55, v79                                // 000000007B1C: 0A9E9F37
	v_mul_f32_e32 v80, v56, v80                                // 000000007B20: 0AA0A138
	v_mfma_f32_16x16x16_bf16 v[204:207], v[118:119], v[146:147], v[204:207]// 000000007B24: D3E100CC 07332576
	v_mul_f32_e32 v81, v57, v81                                // 000000007B2C: 0AA2A339
	v_mul_f32_e32 v82, v58, v82                                // 000000007B30: 0AA4A53A
	v_mul_f32_e32 v83, v59, v83                                // 000000007B34: 0AA6A73B
	v_mfma_f32_16x16x16_bf16 v[208:211], v[120:121], v[146:147], v[208:211]// 000000007B38: D3E100D0 07432578
	v_cmp_u_f32_e64 s[74:75], v78, v78                         // 000000007B40: D048004A 00029D4E
	v_add3_u32 v248, v78, v251, 1                              // 000000007B48: D1FF00F8 0207F74E
	v_cndmask_b32_e64 v28, v248, v250, s[74:75]                // 000000007B50: D100001C 012BF5F8
	v_cmp_u_f32_e64 s[74:75], v79, v79                         // 000000007B58: D048004A 00029F4F
	v_add3_u32 v248, v79, v251, 1                              // 000000007B60: D1FF00F8 0207F74F
	v_cndmask_b32_e64 v29, v248, v250, s[74:75]                // 000000007B68: D100001D 012BF5F8
	v_perm_b32 v75, v29, v28, s64                              // 000000007B70: D1ED004B 0102391D
	v_cmp_u_f32_e64 s[74:75], v80, v80                         // 000000007B78: D048004A 0002A150
	v_add3_u32 v248, v80, v251, 1                              // 000000007B80: D1FF00F8 0207F750
	v_cndmask_b32_e64 v28, v248, v250, s[74:75]                // 000000007B88: D100001C 012BF5F8
	v_cmp_u_f32_e64 s[74:75], v81, v81                         // 000000007B90: D048004A 0002A351
	v_add3_u32 v248, v81, v251, 1                              // 000000007B98: D1FF00F8 0207F751
	v_cndmask_b32_e64 v29, v248, v250, s[74:75]                // 000000007BA0: D100001D 012BF5F8
	v_perm_b32 v76, v29, v28, s64                              // 000000007BA8: D1ED004C 0102391D
	v_cmp_u_f32_e64 s[74:75], v82, v82                         // 000000007BB0: D048004A 0002A552
	v_add3_u32 v248, v82, v251, 1                              // 000000007BB8: D1FF00F8 0207F752
	v_cndmask_b32_e64 v28, v248, v250, s[74:75]                // 000000007BC0: D100001C 012BF5F8
	v_cmp_u_f32_e64 s[74:75], v83, v83                         // 000000007BC8: D048004A 0002A753
	v_add3_u32 v248, v83, v251, 1                              // 000000007BD0: D1FF00F8 0207F753
	v_cndmask_b32_e64 v29, v248, v250, s[74:75]                // 000000007BD8: D100001D 012BF5F8
	v_perm_b32 v77, v29, v28, s64                              // 000000007BE0: D1ED004D 0102391D
	v_mfma_f32_16x16x16_bf16 v[212:215], v[122:123], v[146:147], v[212:215]// 000000007BE8: D3E100D4 0753257A
	v_mov_b32_dpp v18, v75 quad_perm:[1,0,3,2] row_mask:0xf bank_mask:0xf// 000000007BF0: 7E2402FA FF00B14B
	v_perm_b32 v51, v18, v75, v17                              // 000000007BF8: D1ED0033 04469712
	v_mov_b32_dpp v18, v76 quad_perm:[1,0,3,2] row_mask:0xf bank_mask:0xf// 000000007C00: 7E2402FA FF00B14C
	v_mfma_f32_16x16x16_bf16 v[216:219], v[108:109], v[148:149], v[216:219]// 000000007C08: D3E100D8 0763296C
	ds_write_b32 v20, v51 offset:20256                         // 000000007C10: D81A4F20 00003314
	v_mfma_f32_16x16x16_bf16 v[220:223], v[110:111], v[148:149], v[220:223]// 000000007C18: D3E100DC 0773296E
	v_perm_b32 v52, v18, v76, v17                              // 000000007C20: D1ED0034 04469912
	v_mov_b32_dpp v18, v77 quad_perm:[1,0,3,2] row_mask:0xf bank_mask:0xf// 000000007C28: 7E2402FA FF00B14D
	v_perm_b32 v53, v18, v77, v17                              // 000000007C30: D1ED0035 04469B12
	v_mfma_f32_16x16x16_bf16 v[224:227], v[112:113], v[148:149], v[224:227]// 000000007C38: D3E100E0 07832970
	ds_write_b32 v20, v52 offset:22016                         // 000000007C40: D81A5600 00003414
	ds_write_b32 v20, v53 offset:22560                         // 000000007C48: D81A5820 00003514
	v_mfma_f32_16x16x16_bf16 v[228:231], v[114:115], v[148:149], v[228:231]// 000000007C50: D3E100E4 07932972
	v_mfma_f32_16x16x16_bf16 v[232:235], v[116:117], v[148:149], v[232:235]// 000000007C58: D3E100E8 07A32974
	ds_write_b32 v15, v84 offset:4352                          // 000000007C60: D81A1100 0000540F
	ds_write_b32 v15, v85 offset:5408                          // 000000007C68: D81A1520 0000550F
	v_mfma_f32_16x16x16_bf16 v[236:239], v[118:119], v[148:149], v[236:239]// 000000007C70: D3E100EC 07B32976
	v_mfma_f32_16x16x16_bf16 v[240:243], v[120:121], v[148:149], v[240:243]// 000000007C78: D3E100F0 07C32978
	ds_write_b32 v15, v86 offset:4480                          // 000000007C80: D81A1180 0000560F
	ds_write_b32 v15, v87 offset:5536                          // 000000007C88: D81A15A0 0000570F
	v_mfma_f32_16x16x16_bf16 v[244:247], v[122:123], v[148:149], v[244:247]// 000000007C90: D3E100F4 07D3297A
	s_nop 0                                                    // 000000007C98: BF800000
	s_nop 0                                                    // 000000007C9C: BF800000
	s_nop 0                                                    // 000000007CA0: BF800000
	s_barrier                                                  // 000000007CA4: BF8A0000
	v_mfma_f32_16x16x16_bf16 a[160:163], a[144:145], v[72:73], a[160:163]// 000000007CA8: D3E180A0 0E829190
	ds_read_b32 v124, v23 offset:51200                         // 000000007CB0: D86CC800 7C000017
	ds_read_b32 v150, v23 offset:51456                         // 000000007CB8: D86CC900 96000017
	v_mfma_f32_16x16x16_bf16 a[164:167], a[146:147], v[72:73], a[164:167]// 000000007CC0: D3E180A4 0E929192
	global_atomic_pk_add_bf16 v6, v136, s[32:33]               // 000000007CC8: DD488000 00208806
	v_mfma_f32_16x16x16_bf16 a[168:171], a[148:149], v[72:73], a[168:171]// 000000007CD0: D3E180A8 0EA29194
	s_waitcnt lgkmcnt(6)                                       // 000000007CD8: BF8CC67F
	s_barrier                                                  // 000000007CDC: BF8A0000
	v_mfma_f32_16x16x16_bf16 a[172:175], a[150:151], v[72:73], a[172:175]// 000000007CE0: D3E180AC 0EB29196
	v_mfma_f32_16x16x16_bf16 a[176:179], a[152:153], v[72:73], a[176:179]// 000000007CE8: D3E180B0 0EC29198
	ds_read_b128 v[48:51], v19 offset:17408                    // 000000007CF0: D9FE4400 30000013
	v_mfma_f32_16x16x16_bf16 a[180:183], a[154:155], v[72:73], a[180:183]// 000000007CF8: D3E180B4 0ED2919A
	v_mfma_f32_16x16x16_bf16 a[184:187], a[156:157], v[72:73], a[184:187]// 000000007D00: D3E180B8 0EE2919C
	ds_read_b128 v[52:55], v19 offset:18560                    // 000000007D08: D9FE4880 34000013
	v_mfma_f32_16x16x16_bf16 a[188:191], a[158:159], v[72:73], a[188:191]// 000000007D10: D3E180BC 0EF2919E
	global_atomic_pk_add_bf16 v8, v137, s[32:33]               // 000000007D18: DD488000 00208908
	v_mfma_f32_16x16x16_bf16 a[192:195], a[144:145], v[74:75], a[192:195]// 000000007D20: D3E180C0 0F029590
	ds_read_b128 v[56:59], v19 offset:19712                    // 000000007D28: D9FE4D00 38000013
	v_mfma_f32_16x16x16_bf16 a[196:199], a[146:147], v[74:75], a[196:199]// 000000007D30: D3E180C4 0F129592
	v_mfma_f32_16x16x16_bf16 a[200:203], a[148:149], v[74:75], a[200:203]// 000000007D38: D3E180C8 0F229594
	ds_read_b128 v[60:63], v19 offset:20864                    // 000000007D40: D9FE5180 3C000013
	v_mfma_f32_16x16x16_bf16 a[204:207], a[150:151], v[74:75], a[204:207]// 000000007D48: D3E180CC 0F329596
	v_mfma_f32_16x16x16_bf16 a[208:211], a[152:153], v[74:75], a[208:211]// 000000007D50: D3E180D0 0F429598
	ds_read_b128 v[64:67], v19 offset:22016                    // 000000007D58: D9FE5600 40000013
	v_mfma_f32_16x16x16_bf16 a[212:215], a[154:155], v[74:75], a[212:215]// 000000007D60: D3E180D4 0F52959A
	global_atomic_pk_add_bf16 v6, v138, s[32:33] offset:128    // 000000007D68: DD488080 00208A06
	v_mfma_f32_16x16x16_bf16 a[216:219], a[156:157], v[74:75], a[216:219]// 000000007D70: D3E180D8 0F62959C
	ds_read_b128 v[68:71], v19 offset:23168                    // 000000007D78: D9FE5A80 44000013
	v_mfma_f32_16x16x16_bf16 a[220:223], a[158:159], v[74:75], a[220:223]// 000000007D80: D3E180DC 0F72959E
	v_mfma_f32_16x16x16_bf16 a[224:227], a[144:145], v[76:77], a[224:227]// 000000007D88: D3E180E0 0F829990
	ds_write_b32 v15, v88 offset:13056                         // 000000007D90: D81A3300 0000580F
	v_mfma_f32_16x16x16_bf16 a[228:231], a[146:147], v[76:77], a[228:231]// 000000007D98: D3E180E4 0F929992
	v_mfma_f32_16x16x16_bf16 a[232:235], a[148:149], v[76:77], a[232:235]// 000000007DA0: D3E180E8 0FA29994
	ds_write_b32 v15, v89 offset:14112                         // 000000007DA8: D81A3720 0000590F
	v_mfma_f32_16x16x16_bf16 a[236:239], a[150:151], v[76:77], a[236:239]// 000000007DB0: D3E180EC 0FB29996
	global_atomic_pk_add_bf16 v8, v139, s[32:33] offset:128    // 000000007DB8: DD488080 00208B08
	v_mfma_f32_16x16x16_bf16 a[240:243], a[152:153], v[76:77], a[240:243]// 000000007DC0: D3E180F0 0FC29998
	ds_write_b32 v15, v90 offset:13184                         // 000000007DC8: D81A3380 00005A0F
	v_mfma_f32_16x16x16_bf16 a[244:247], a[154:155], v[76:77], a[244:247]// 000000007DD0: D3E180F4 0FD2999A
	v_mfma_f32_16x16x16_bf16 a[248:251], a[156:157], v[76:77], a[248:251]// 000000007DD8: D3E180F8 0FE2999C
	ds_write_b32 v15, v91 offset:14240                         // 000000007DE0: D81A37A0 00005B0F
	v_mfma_f32_16x16x16_bf16 a[252:255], a[158:159], v[76:77], a[252:255]// 000000007DE8: D3E180FC 0FF2999E
	s_waitcnt vmcnt(4) lgkmcnt(4)                              // 000000007DF0: BF8C0474
	s_barrier                                                  // 000000007DF4: BF8A0000
	v_mfma_f32_16x16x16_bf16 v[128:131], a[48:49], v[48:49], 0 // 000000007DF8: D3E10080 0A026130
	ds_read_b128 a[144:147], v12                               // 000000007E00: DBFE0000 9000000C
	buffer_load_dword v36, v1, s[8:11], 0 idxen                // 000000007E08: E0502000 80022401
	v_mfma_f32_16x16x16_bf16 v[128:131], a[52:53], v[50:51], v[128:131]// 000000007E10: D3E10080 0E026534
	v_mul_f32_e32 v124, s49, v124                              // 000000007E18: 0AF8F831
	s_nop 0                                                    // 000000007E1C: BF800000
	v_mfma_f32_16x16x16_bf16 v[128:131], a[56:57], v[52:53], v[128:131]// 000000007E20: D3E10080 0E026938
	ds_read_b128 a[148:151], v12 offset:512                    // 000000007E28: DBFE0200 9400000C
	buffer_load_dword v37, v2, s[8:11], 0 idxen                // 000000007E30: E0502000 80022502
	v_mfma_f32_16x16x16_bf16 v[128:131], a[60:61], v[54:55], v[128:131]// 000000007E38: D3E10080 0E026D3C
	v_mfma_f32_16x16x16_bf16 v[128:131], a[64:65], v[56:57], v[128:131]// 000000007E40: D3E10080 0E027140
	ds_read_b128 a[152:155], v12 offset:2176                   // 000000007E48: DBFE0880 9800000C
	buffer_load_dword v38, v3, s[8:11], 0 idxen                // 000000007E50: E0502000 80022603
	v_mfma_f32_16x16x16_bf16 v[128:131], a[68:69], v[58:59], v[128:131]// 000000007E58: D3E10080 0E027544
	v_perm_b32 v84, v33, v32, s63                              // 000000007E60: D1ED0054 00FE4121
	v_perm_b32 v85, v33, v32, s64                              // 000000007E68: D1ED0055 01024121
	v_mfma_f32_16x16x16_bf16 v[128:131], a[72:73], v[60:61], v[128:131]// 000000007E70: D3E10080 0E027948
	ds_read_b128 a[156:159], v12 offset:2688                   // 000000007E78: DBFE0A80 9C00000C
	buffer_load_dword v39, v4, s[8:11], 0 idxen                // 000000007E80: E0502000 80022704
	v_mfma_f32_16x16x16_bf16 v[128:131], a[76:77], v[62:63], v[128:131]// 000000007E88: D3E10080 0E027D4C
	v_perm_b32 v86, v35, v34, s63                              // 000000007E90: D1ED0056 00FE4523
	v_perm_b32 v87, v35, v34, s64                              // 000000007E98: D1ED0057 01024523
	v_mfma_f32_16x16x16_bf16 v[128:131], a[80:81], v[64:65], v[128:131]// 000000007EA0: D3E10080 0E028150
	ds_read_b128 v[92:95], v12 offset:8704                     // 000000007EA8: D9FE2200 5C00000C
	buffer_load_dword v44, v1, s[20:23], 0 idxen               // 000000007EB0: E0502000 80052C01
	v_mfma_f32_16x16x16_bf16 v[128:131], a[84:85], v[66:67], v[128:131]// 000000007EB8: D3E10080 0E028554
	v_perm_b32 v88, v41, v40, s63                              // 000000007EC0: D1ED0058 00FE5129
	v_perm_b32 v89, v41, v40, s64                              // 000000007EC8: D1ED0059 01025129
	v_mfma_f32_16x16x16_bf16 v[128:131], a[88:89], v[68:69], v[128:131]// 000000007ED0: D3E10080 0E028958
	ds_read_b128 v[96:99], v12 offset:9216                     // 000000007ED8: D9FE2400 6000000C
	buffer_load_dword v45, v2, s[20:23], 0 idxen               // 000000007EE0: E0502000 80052D02
	v_mfma_f32_16x16x16_bf16 v[128:131], a[92:93], v[70:71], v[128:131]// 000000007EE8: D3E10080 0E028D5C
	v_perm_b32 v90, v43, v42, s63                              // 000000007EF0: D1ED005A 00FE552B
	v_perm_b32 v91, v43, v42, s64                              // 000000007EF8: D1ED005B 0102552B
	v_mfma_f32_16x16x16_bf16 v[132:135], a[50:51], v[48:49], 0 // 000000007F00: D3E10084 0A026132
	ds_read_b128 v[100:103], v12 offset:10880                  // 000000007F08: D9FE2A80 6400000C
	buffer_load_dword v46, v3, s[20:23], 0 idxen               // 000000007F10: E0502000 80052E03
	v_mfma_f32_16x16x16_bf16 v[132:135], a[54:55], v[50:51], v[132:135]// 000000007F18: D3E10084 0E126536
	v_mov_b32_dpp v127, v124 quad_perm:[3,3,3,3] row_mask:0xf bank_mask:0xf// 000000007F20: 7EFE02FA FF00FF7C
	v_mov_b32_dpp v126, v124 quad_perm:[2,2,2,2] row_mask:0xf bank_mask:0xf// 000000007F28: 7EFC02FA FF00AA7C
	v_mfma_f32_16x16x16_bf16 v[132:135], a[58:59], v[52:53], v[132:135]// 000000007F30: D3E10084 0E12693A
	ds_read_b128 v[104:107], v12 offset:11392                  // 000000007F38: D9FE2C80 6800000C
	buffer_load_dword v47, v4, s[20:23], 0 idxen               // 000000007F40: E0502000 80052F04
	v_mfma_f32_16x16x16_bf16 v[132:135], a[62:63], v[54:55], v[132:135]// 000000007F48: D3E10084 0E126D3E
	v_mov_b32_dpp v125, v124 quad_perm:[1,1,1,1] row_mask:0xf bank_mask:0xf// 000000007F50: 7EFA02FA FF00557C
	v_mov_b32_dpp v124, v124 quad_perm:[0,0,0,0] row_mask:0xf bank_mask:0xf// 000000007F58: 7EF802FA FF00007C
	s_add_u32 s60, 64, s59                                     // 000000007F60: 803C3BC0
	v_mfma_f32_16x16x16_bf16 v[132:135], a[66:67], v[56:57], v[132:135]// 000000007F64: D3E10084 0E127142
	buffer_load_dword v11, s[24:27], 0 idxen lds               // 000000007F6C: E0512000 8006000B
	v_mfma_f32_16x16x16_bf16 v[132:135], a[70:71], v[58:59], v[132:135]// 000000007F74: D3E10084 0E127546
	s_cmp_lt_u32 s60, s58                                      // 000000007F7C: BF0A3A3C
	s_cselect_b32 s68, s68, 0                                  // 000000007F80: 85448044
	s_cselect_b32 s69, s69, 0                                  // 000000007F84: 85458045
	v_mfma_f32_16x16x16_bf16 v[132:135], a[74:75], v[60:61], v[132:135]// 000000007F88: D3E10084 0E12794A
	s_add_u32 s8, s68, s8                                      // 000000007F90: 80080844
	s_addc_u32 s9, 0, s9                                       // 000000007F94: 82090980
	v_mfma_f32_16x16x16_bf16 v[132:135], a[78:79], v[62:63], v[132:135]// 000000007F98: D3E10084 0E127D4E
	s_add_u32 s20, s68, s20                                    // 000000007FA0: 80141444
	s_addc_u32 s21, 0, s21                                     // 000000007FA4: 82151580
	v_mfma_f32_16x16x16_bf16 v[132:135], a[82:83], v[64:65], v[132:135]// 000000007FA8: D3E10084 0E128152
	s_mov_b32 m0, s76                                          // 000000007FB0: BEFC004C
	v_add_u32_e32 v11, s69, v11                                // 000000007FB4: 68161645
	v_mfma_f32_16x16x16_bf16 v[132:135], a[86:87], v[66:67], v[132:135]// 000000007FB8: D3E10084 0E128556
	s_cmp_ge_u32 s59, 16                                       // 000000007FC0: BF09903B
	s_cselect_b32 s66, s67, s66                                // 000000007FC4: 85424243
	v_mfma_f32_16x16x16_bf16 v[132:135], a[90:91], v[68:69], v[132:135]// 000000007FC8: D3E10084 0E12895A
	s_addk_i32 s59, 0x10                                       // 000000007FD0: B73B0010
	s_nop 0                                                    // 000000007FD4: BF800000
	s_cmp_lt_i32 s59, s58                                      // 000000007FD8: BF043A3B
	v_mfma_f32_16x16x16_bf16 v[132:135], a[94:95], v[70:71], v[132:135]// 000000007FDC: D3E10084 0E128D5E
	s_cbranch_scc0 label_0D72                                  // 000000007FE4: BF84FCF8
	s_waitcnt lgkmcnt(4)                                       // 000000007FE8: BF8CC47F
	s_barrier                                                  // 000000007FEC: BF8A0000
	v_mfma_f32_16x16x16_bf16 v[48:51], a[144:145], a[0:1], 0   // 000000007FF0: D3E10030 1A020190
	v_mul_f32_e32 v128, s48, v128                              // 000000007FF8: 0B010030
	v_mul_f32_e32 v129, s48, v129                              // 000000007FFC: 0B030230
	v_mfma_f32_16x16x16_bf16 v[48:51], a[146:147], a[2:3], v[48:51]// 000000008000: D3E10030 1CC20592
	ds_write_b32 v13, v40 offset:8704                          // 000000008008: D81A2200 0000280D
	ds_write_b32 v13, v41 offset:9760                          // 000000008010: D81A2620 0000290D
	v_mfma_f32_16x16x16_bf16 v[48:51], a[148:149], a[4:5], v[48:51]// 000000008018: D3E10030 1CC20994
	v_mul_f32_e32 v130, s48, v130                              // 000000008020: 0B050430
	v_mul_f32_e32 v131, s48, v131                              // 000000008024: 0B070630
	v_mfma_f32_16x16x16_bf16 v[48:51], a[150:151], a[6:7], v[48:51]// 000000008028: D3E10030 1CC20D96
	ds_write_b32 v13, v42 offset:8832                          // 000000008030: D81A2280 00002A0D
	ds_write_b32 v13, v43 offset:9888                          // 000000008038: D81A26A0 00002B0D
	v_mfma_f32_16x16x16_bf16 v[48:51], a[152:153], a[8:9], v[48:51]// 000000008040: D3E10030 1CC21198
	v_mul_f32_e32 v132, s48, v132                              // 000000008048: 0B090830
	v_mul_f32_e32 v133, s48, v133                              // 00000000804C: 0B0B0A30
	v_mfma_f32_16x16x16_bf16 v[48:51], a[154:155], a[10:11], v[48:51]// 000000008050: D3E10030 1CC2159A
	v_mul_f32_e32 v134, s48, v134                              // 000000008058: 0B0D0C30
	v_mul_f32_e32 v135, s48, v135                              // 00000000805C: 0B0F0E30
	v_mfma_f32_16x16x16_bf16 v[48:51], a[156:157], a[12:13], v[48:51]// 000000008060: D3E10030 1CC2199C
	v_cmp_u_f32_e64 s[74:75], v128, v128                       // 000000008068: D048004A 00030180
	v_add3_u32 v248, v128, v251, 1                             // 000000008070: D1FF00F8 0207F780
	v_cndmask_b32_e64 v28, v248, v250, s[74:75]                // 000000008078: D100001C 012BF5F8
	v_cmp_u_f32_e64 s[74:75], v129, v129                       // 000000008080: D048004A 00030381
	v_add3_u32 v248, v129, v251, 1                             // 000000008088: D1FF00F8 0207F781
	v_cndmask_b32_e64 v29, v248, v250, s[74:75]                // 000000008090: D100001D 012BF5F8
	v_perm_b32 v128, v29, v28, s64                             // 000000008098: D1ED0080 0102391D
	v_cmp_u_f32_e64 s[74:75], v130, v130                       // 0000000080A0: D048004A 00030582
	v_add3_u32 v248, v130, v251, 1                             // 0000000080A8: D1FF00F8 0207F782
	v_cndmask_b32_e64 v28, v248, v250, s[74:75]                // 0000000080B0: D100001C 012BF5F8
	v_cmp_u_f32_e64 s[74:75], v131, v131                       // 0000000080B8: D048004A 00030783
	v_add3_u32 v248, v131, v251, 1                             // 0000000080C0: D1FF00F8 0207F783
	v_cndmask_b32_e64 v29, v248, v250, s[74:75]                // 0000000080C8: D100001D 012BF5F8
	v_perm_b32 v129, v29, v28, s64                             // 0000000080D0: D1ED0081 0102391D
	v_mfma_f32_16x16x16_bf16 v[48:51], a[158:159], a[14:15], v[48:51]// 0000000080D8: D3E10030 1CC21D9E
	v_cmp_u_f32_e64 s[74:75], v132, v132                       // 0000000080E0: D048004A 00030984
	v_add3_u32 v248, v132, v251, 1                             // 0000000080E8: D1FF00F8 0207F784
	v_cndmask_b32_e64 v28, v248, v250, s[74:75]                // 0000000080F0: D100001C 012BF5F8
	v_cmp_u_f32_e64 s[74:75], v133, v133                       // 0000000080F8: D048004A 00030B85
	v_add3_u32 v248, v133, v251, 1                             // 000000008100: D1FF00F8 0207F785
	v_cndmask_b32_e64 v29, v248, v250, s[74:75]                // 000000008108: D100001D 012BF5F8
	v_perm_b32 v130, v29, v28, s64                             // 000000008110: D1ED0082 0102391D
	v_cmp_u_f32_e64 s[74:75], v134, v134                       // 000000008118: D048004A 00030D86
	v_add3_u32 v248, v134, v251, 1                             // 000000008120: D1FF00F8 0207F786
	v_cndmask_b32_e64 v28, v248, v250, s[74:75]                // 000000008128: D100001C 012BF5F8
	v_cmp_u_f32_e64 s[74:75], v135, v135                       // 000000008130: D048004A 00030F87
	v_add3_u32 v248, v135, v251, 1                             // 000000008138: D1FF00F8 0207F787
	v_cndmask_b32_e64 v29, v248, v250, s[74:75]                // 000000008140: D100001D 012BF5F8
	v_perm_b32 v131, v29, v28, s64                             // 000000008148: D1ED0083 0102391D
	v_mfma_f32_16x16x16_bf16 v[52:55], a[144:145], a[16:17], 0 // 000000008150: D3E10034 1A022190
	v_mfma_f32_16x16x16_bf16 v[52:55], a[146:147], a[18:19], v[52:55]// 000000008158: D3E10034 1CD22592
	ds_write_b64 v22, v[128:129] offset:24320                  // 000000008160: D89A5F00 00008016
	v_mfma_f32_16x16x16_bf16 v[52:55], a[148:149], a[20:21], v[52:55]// 000000008168: D3E10034 1CD22994
	v_mfma_f32_16x16x16_bf16 v[52:55], a[150:151], a[22:23], v[52:55]// 000000008170: D3E10034 1CD22D96
	ds_write_b64 v22, v[130:131] offset:24864                  // 000000008178: D89A6120 00008216
	v_mfma_f32_16x16x16_bf16 v[52:55], a[152:153], a[24:25], v[52:55]// 000000008180: D3E10034 1CD23198
	v_mfma_f32_16x16x16_bf16 v[52:55], a[154:155], a[26:27], v[52:55]// 000000008188: D3E10034 1CD2359A
	ds_read_b128 v[108:111], v14 offset:13056                  // 000000008190: D9FE3300 6C00000E
	ds_write_b32 v13, v32                                      // 000000008198: D81A0000 0000200D
	v_mfma_f32_16x16x16_bf16 v[52:55], a[156:157], a[28:29], v[52:55]// 0000000081A0: D3E10034 1CD2399C
	v_mfma_f32_16x16x16_bf16 v[52:55], a[158:159], a[30:31], v[52:55]// 0000000081A8: D3E10034 1CD23D9E
	v_mfma_f32_16x16x16_bf16 v[56:59], a[144:145], a[32:33], 0 // 0000000081B0: D3E10038 1A024190
	ds_read_b128 v[112:115], v14 offset:13568                  // 0000000081B8: D9FE3500 7000000E
	ds_write_b32 v13, v33 offset:1056                          // 0000000081C0: D81A0420 0000210D
	v_mfma_f32_16x16x16_bf16 v[56:59], a[146:147], a[34:35], v[56:59]// 0000000081C8: D3E10038 1CE24592
	v_mfma_f32_16x16x16_bf16 v[56:59], a[148:149], a[36:37], v[56:59]// 0000000081D0: D3E10038 1CE24994
	v_mfma_f32_16x16x16_bf16 v[56:59], a[150:151], a[38:39], v[56:59]// 0000000081D8: D3E10038 1CE24D96
	ds_read_b128 v[116:119], v14 offset:15232                  // 0000000081E0: D9FE3B80 7400000E
	ds_write_b32 v13, v34 offset:128                           // 0000000081E8: D81A0080 0000220D
	v_mfma_f32_16x16x16_bf16 v[56:59], a[152:153], a[40:41], v[56:59]// 0000000081F0: D3E10038 1CE25198
	v_mfma_f32_16x16x16_bf16 v[56:59], a[154:155], a[42:43], v[56:59]// 0000000081F8: D3E10038 1CE2559A
	v_mfma_f32_16x16x16_bf16 v[56:59], a[156:157], a[44:45], v[56:59]// 000000008200: D3E10038 1CE2599C
	ds_read_b128 v[120:123], v14 offset:15744                  // 000000008208: D9FE3D80 7800000E
	ds_write_b32 v13, v35 offset:1184                          // 000000008210: D81A04A0 0000230D
	v_mfma_f32_16x16x16_bf16 v[56:59], a[158:159], a[46:47], v[56:59]// 000000008218: D3E10038 1CE25D9E
	s_cmp_lt_i32 s73, 3                                        // 000000008220: BF048349
	s_cbranch_scc0 label_1119                                  // 000000008224: BF84000F
	s_cmp_eq_i32 s73, 1                                        // 000000008228: BF008149
	s_cbranch_scc1 label_110F                                  // 00000000822C: BF850003
	s_cmp_eq_i32 s73, 2                                        // 000000008230: BF008249
	s_cbranch_scc1 label_1114                                  // 000000008234: BF850006
	s_branch label_1119                                        // 000000008238: BF82000A

000000000000823c <label_110F>:
	v_mov_b32_e32 v52, v151                                    // 00000000823C: 7E680397
	v_mov_b32_e32 v53, v151                                    // 000000008240: 7E6A0397
	v_mov_b32_e32 v54, v151                                    // 000000008244: 7E6C0397
	v_mov_b32_e32 v55, v151                                    // 000000008248: 7E6E0397
	s_branch label_1114                                        // 00000000824C: BF820000

0000000000008250 <label_1114>:
	v_mov_b32_e32 v56, v151                                    // 000000008250: 7E700397
	v_mov_b32_e32 v57, v151                                    // 000000008254: 7E720397
	v_mov_b32_e32 v58, v151                                    // 000000008258: 7E740397
	v_mov_b32_e32 v59, v151                                    // 00000000825C: 7E760397
	s_branch label_1119                                        // 000000008260: BF820000

0000000000008264 <label_1119>:
	s_waitcnt lgkmcnt(8)                                       // 000000008264: BF8CC87F
	s_barrier                                                  // 000000008268: BF8A0000
	v_mfma_f32_16x16x16_bf16 v[72:75], v[92:93], a[96:97], 0   // 00000000826C: D3E10048 1202C15C
	v_fma_f32 v48, v48, s57, -v124                             // 000000008274: D1CB0030 85F07330
	v_fma_f32 v49, v49, s57, -v125                             // 00000000827C: D1CB0031 85F47331
	v_fma_f32 v50, v50, s57, -v126                             // 000000008284: D1CB0032 85F87332
	v_mfma_f32_16x16x16_bf16 v[72:75], v[94:95], a[98:99], v[72:75]// 00000000828C: D3E10048 1522C55E
	ds_read_b128 a[144:147], v14 offset:4352                   // 000000008294: DBFE1100 9000000E
	ds_read_b128 a[148:151], v14 offset:4864                   // 00000000829C: DBFE1300 9400000E
	v_mfma_f32_16x16x16_bf16 v[72:75], v[96:97], a[100:101], v[72:75]// 0000000082A4: D3E10048 1522C960
	v_fma_f32 v51, v51, s57, -v127                             // 0000000082AC: D1CB0033 85FC7333
	v_fma_f32 v52, v52, s57, -v124                             // 0000000082B4: D1CB0034 85F07334
	v_fma_f32 v53, v53, s57, -v125                             // 0000000082BC: D1CB0035 85F47335
	v_mfma_f32_16x16x16_bf16 v[72:75], v[98:99], a[102:103], v[72:75]// 0000000082C4: D3E10048 1522CD62
	v_fma_f32 v54, v54, s57, -v126                             // 0000000082CC: D1CB0036 85F87336
	v_fma_f32 v55, v55, s57, -v127                             // 0000000082D4: D1CB0037 85FC7337
	v_fma_f32 v56, v56, s57, -v124                             // 0000000082DC: D1CB0038 85F07338
	v_mfma_f32_16x16x16_bf16 v[72:75], v[100:101], a[104:105], v[72:75]// 0000000082E4: D3E10048 1522D164
	v_fma_f32 v57, v57, s57, -v125                             // 0000000082EC: D1CB0039 85F47339
	v_fma_f32 v58, v58, s57, -v126                             // 0000000082F4: D1CB003A 85F8733A
	v_fma_f32 v59, v59, s57, -v127                             // 0000000082FC: D1CB003B 85FC733B
	v_mfma_f32_16x16x16_bf16 v[72:75], v[102:103], a[106:107], v[72:75]// 000000008304: D3E10048 1522D566
	ds_read_b128 a[152:155], v14 offset:6528                   // 00000000830C: DBFE1980 9800000E
	ds_read_b128 a[156:159], v14 offset:7040                   // 000000008314: DBFE1B80 9C00000E
	v_mfma_f32_16x16x16_bf16 v[72:75], v[104:105], a[108:109], v[72:75]// 00000000831C: D3E10048 1522D968
	v_exp_f32_e32 v48, v48                                     // 000000008324: 7E604130
	v_mfma_f32_16x16x16_bf16 v[72:75], v[106:107], a[110:111], v[72:75]// 000000008328: D3E10048 1522DD6A
	v_exp_f32_e32 v49, v49                                     // 000000008330: 7E624131
	v_mfma_f32_16x16x16_bf16 v[76:79], v[92:93], a[112:113], 0 // 000000008334: D3E1004C 1202E15C
	v_exp_f32_e32 v50, v50                                     // 00000000833C: 7E644132
	v_mfma_f32_16x16x16_bf16 v[76:79], v[94:95], a[114:115], v[76:79]// 000000008340: D3E1004C 1532E55E
	ds_read_b32 v136, v21 offset:24320                         // 000000008348: D86C5F00 88000015
	ds_read_b32 v137, v21 offset:24336                         // 000000008350: D86C5F10 89000015
	v_mfma_f32_16x16x16_bf16 v[76:79], v[96:97], a[116:117], v[76:79]// 000000008358: D3E1004C 1532E960
	v_exp_f32_e32 v51, v51                                     // 000000008360: 7E664133
	v_mfma_f32_16x16x16_bf16 v[76:79], v[98:99], a[118:119], v[76:79]// 000000008364: D3E1004C 1532ED62
	ds_read_b32 v138, v21 offset:26496                         // 00000000836C: D86C6780 8A000015
	ds_read_b32 v139, v21 offset:26512                         // 000000008374: D86C6790 8B000015
	v_mfma_f32_16x16x16_bf16 v[76:79], v[100:101], a[120:121], v[76:79]// 00000000837C: D3E1004C 1532F164
	v_exp_f32_e32 v52, v52                                     // 000000008384: 7E684134
	v_mfma_f32_16x16x16_bf16 v[76:79], v[102:103], a[122:123], v[76:79]// 000000008388: D3E1004C 1532F566
	v_exp_f32_e32 v53, v53                                     // 000000008390: 7E6A4135
	v_mfma_f32_16x16x16_bf16 v[76:79], v[104:105], a[124:125], v[76:79]// 000000008394: D3E1004C 1532F968
	v_exp_f32_e32 v54, v54                                     // 00000000839C: 7E6C4136
	v_mfma_f32_16x16x16_bf16 v[76:79], v[106:107], a[126:127], v[76:79]// 0000000083A0: D3E1004C 1532FD6A
	v_exp_f32_e32 v55, v55                                     // 0000000083A8: 7E6E4137
	v_mfma_f32_16x16x16_bf16 v[80:83], v[92:93], a[128:129], 0 // 0000000083AC: D3E10050 1203015C
	v_exp_f32_e32 v56, v56                                     // 0000000083B4: 7E704138
	v_mfma_f32_16x16x16_bf16 v[80:83], v[94:95], a[130:131], v[80:83]// 0000000083B8: D3E10050 1543055E
	v_exp_f32_e32 v57, v57                                     // 0000000083C0: 7E724139
	v_mfma_f32_16x16x16_bf16 v[80:83], v[96:97], a[132:133], v[80:83]// 0000000083C4: D3E10050 15430960
	v_exp_f32_e32 v58, v58                                     // 0000000083CC: 7E74413A
	v_mfma_f32_16x16x16_bf16 v[80:83], v[98:99], a[134:135], v[80:83]// 0000000083D0: D3E10050 15430D62
	v_exp_f32_e32 v59, v59                                     // 0000000083D8: 7E76413B
	v_mfma_f32_16x16x16_bf16 v[80:83], v[100:101], a[136:137], v[80:83]// 0000000083DC: D3E10050 15431164
	v_cmp_u_f32_e64 s[74:75], v48, v48                         // 0000000083E4: D048004A 00026130
	v_add3_u32 v248, v48, v251, 1                              // 0000000083EC: D1FF00F8 0207F730
	v_cndmask_b32_e64 v28, v248, v250, s[74:75]                // 0000000083F4: D100001C 012BF5F8
	v_cmp_u_f32_e64 s[74:75], v49, v49                         // 0000000083FC: D048004A 00026331
	v_add3_u32 v248, v49, v251, 1                              // 000000008404: D1FF00F8 0207F731
	v_cndmask_b32_e64 v29, v248, v250, s[74:75]                // 00000000840C: D100001D 012BF5F8
	v_perm_b32 v144, v29, v28, s64                             // 000000008414: D1ED0090 0102391D
	v_cmp_u_f32_e64 s[74:75], v50, v50                         // 00000000841C: D048004A 00026532
	v_add3_u32 v248, v50, v251, 1                              // 000000008424: D1FF00F8 0207F732
	v_cndmask_b32_e64 v28, v248, v250, s[74:75]                // 00000000842C: D100001C 012BF5F8
	v_cmp_u_f32_e64 s[74:75], v51, v51                         // 000000008434: D048004A 00026733
	v_add3_u32 v248, v51, v251, 1                              // 00000000843C: D1FF00F8 0207F733
	v_cndmask_b32_e64 v29, v248, v250, s[74:75]                // 000000008444: D100001D 012BF5F8
	v_perm_b32 v145, v29, v28, s64                             // 00000000844C: D1ED0091 0102391D
	v_cmp_u_f32_e64 s[74:75], v52, v52                         // 000000008454: D048004A 00026934
	v_add3_u32 v248, v52, v251, 1                              // 00000000845C: D1FF00F8 0207F734
	v_cndmask_b32_e64 v28, v248, v250, s[74:75]                // 000000008464: D100001C 012BF5F8
	v_cmp_u_f32_e64 s[74:75], v53, v53                         // 00000000846C: D048004A 00026B35
	v_add3_u32 v248, v53, v251, 1                              // 000000008474: D1FF00F8 0207F735
	v_cndmask_b32_e64 v29, v248, v250, s[74:75]                // 00000000847C: D100001D 012BF5F8
	v_perm_b32 v146, v29, v28, s64                             // 000000008484: D1ED0092 0102391D
	v_mfma_f32_16x16x16_bf16 v[80:83], v[102:103], a[138:139], v[80:83]// 00000000848C: D3E10050 15431566
	v_cmp_u_f32_e64 s[74:75], v54, v54                         // 000000008494: D048004A 00026D36
	v_add3_u32 v248, v54, v251, 1                              // 00000000849C: D1FF00F8 0207F736
	v_cndmask_b32_e64 v28, v248, v250, s[74:75]                // 0000000084A4: D100001C 012BF5F8
	v_cmp_u_f32_e64 s[74:75], v55, v55                         // 0000000084AC: D048004A 00026F37
	v_add3_u32 v248, v55, v251, 1                              // 0000000084B4: D1FF00F8 0207F737
	v_cndmask_b32_e64 v29, v248, v250, s[74:75]                // 0000000084BC: D100001D 012BF5F8
	v_perm_b32 v147, v29, v28, s64                             // 0000000084C4: D1ED0093 0102391D
	v_cmp_u_f32_e64 s[74:75], v56, v56                         // 0000000084CC: D048004A 00027138
	v_add3_u32 v248, v56, v251, 1                              // 0000000084D4: D1FF00F8 0207F738
	v_cndmask_b32_e64 v28, v248, v250, s[74:75]                // 0000000084DC: D100001C 012BF5F8
	v_cmp_u_f32_e64 s[74:75], v57, v57                         // 0000000084E4: D048004A 00027339
	v_add3_u32 v248, v57, v251, 1                              // 0000000084EC: D1FF00F8 0207F739
	v_cndmask_b32_e64 v29, v248, v250, s[74:75]                // 0000000084F4: D100001D 012BF5F8
	v_perm_b32 v148, v29, v28, s64                             // 0000000084FC: D1ED0094 0102391D
	v_cmp_u_f32_e64 s[74:75], v58, v58                         // 000000008504: D048004A 0002753A
	v_add3_u32 v248, v58, v251, 1                              // 00000000850C: D1FF00F8 0207F73A
	v_cndmask_b32_e64 v28, v248, v250, s[74:75]                // 000000008514: D100001C 012BF5F8
	v_cmp_u_f32_e64 s[74:75], v59, v59                         // 00000000851C: D048004A 0002773B
	v_add3_u32 v248, v59, v251, 1                              // 000000008524: D1FF00F8 0207F73B
	v_cndmask_b32_e64 v29, v248, v250, s[74:75]                // 00000000852C: D100001D 012BF5F8
	v_perm_b32 v149, v29, v28, s64                             // 000000008534: D1ED0095 0102391D
	v_mfma_f32_16x16x16_bf16 v[80:83], v[104:105], a[140:141], v[80:83]// 00000000853C: D3E10050 15431968
	s_add_u32 s32, s66, s32                                    // 000000008544: 80202042
	s_addc_u32 s33, 0, s33                                     // 000000008548: 82212180
	v_mfma_f32_16x16x16_bf16 v[80:83], v[106:107], a[142:143], v[80:83]// 00000000854C: D3E10050 15431D6A
	s_waitcnt lgkmcnt(0)                                       // 000000008554: BF8CC07F
	s_barrier                                                  // 000000008558: BF8A0000
	v_mfma_f32_16x16x16_bf16 v[152:155], v[108:109], v[144:145], v[152:155]// 00000000855C: D3E10098 0663216C
	v_subrev_f32_dpp v72, v150, v72 quad_perm:[0,0,0,0] row_mask:0xf bank_mask:0xf// 000000008564: 069090FA FF000096
	v_subrev_f32_dpp v73, v150, v73 quad_perm:[1,1,1,1] row_mask:0xf bank_mask:0xf// 00000000856C: 069292FA FF005596
	v_subrev_f32_dpp v74, v150, v74 quad_perm:[2,2,2,2] row_mask:0xf bank_mask:0xf// 000000008574: 069494FA FF00AA96
	v_mfma_f32_16x16x16_bf16 v[156:159], v[110:111], v[144:145], v[156:159]// 00000000857C: D3E1009C 0673216E
	v_subrev_f32_dpp v75, v150, v75 quad_perm:[3,3,3,3] row_mask:0xf bank_mask:0xf// 000000008584: 069696FA FF00FF96
	v_subrev_f32_dpp v76, v150, v76 quad_perm:[0,0,0,0] row_mask:0xf bank_mask:0xf// 00000000858C: 069898FA FF000096
	v_subrev_f32_dpp v77, v150, v77 quad_perm:[1,1,1,1] row_mask:0xf bank_mask:0xf// 000000008594: 069A9AFA FF005596
	v_mfma_f32_16x16x16_bf16 v[160:163], v[112:113], v[144:145], v[160:163]// 00000000859C: D3E100A0 06832170
	v_mul_f32_e32 v72, v48, v72                                // 0000000085A4: 0A909130
	v_mul_f32_e32 v73, v49, v73                                // 0000000085A8: 0A929331
	v_mul_f32_e32 v74, v50, v74                                // 0000000085AC: 0A949532
	v_mfma_f32_16x16x16_bf16 v[164:167], v[114:115], v[144:145], v[164:167]// 0000000085B0: D3E100A4 06932172
	v_mul_f32_e32 v75, v51, v75                                // 0000000085B8: 0A969733
	v_mul_f32_e32 v76, v52, v76                                // 0000000085BC: 0A989934
	v_mul_f32_e32 v77, v53, v77                                // 0000000085C0: 0A9A9B35
	v_mfma_f32_16x16x16_bf16 v[168:171], v[116:117], v[144:145], v[168:171]// 0000000085C4: D3E100A8 06A32174
	v_cmp_u_f32_e64 s[74:75], v72, v72                         // 0000000085CC: D048004A 00029148
	v_add3_u32 v248, v72, v251, 1                              // 0000000085D4: D1FF00F8 0207F748
	v_cndmask_b32_e64 v28, v248, v250, s[74:75]                // 0000000085DC: D100001C 012BF5F8
	v_cmp_u_f32_e64 s[74:75], v73, v73                         // 0000000085E4: D048004A 00029349
	v_add3_u32 v248, v73, v251, 1                              // 0000000085EC: D1FF00F8 0207F749
	v_cndmask_b32_e64 v29, v248, v250, s[74:75]                // 0000000085F4: D100001D 012BF5F8
	v_perm_b32 v72, v29, v28, s64                              // 0000000085FC: D1ED0048 0102391D
	v_cmp_u_f32_e64 s[74:75], v74, v74                         // 000000008604: D048004A 0002954A
	v_add3_u32 v248, v74, v251, 1                              // 00000000860C: D1FF00F8 0207F74A
	v_cndmask_b32_e64 v28, v248, v250, s[74:75]                // 000000008614: D100001C 012BF5F8
	v_cmp_u_f32_e64 s[74:75], v75, v75                         // 00000000861C: D048004A 0002974B
	v_add3_u32 v248, v75, v251, 1                              // 000000008624: D1FF00F8 0207F74B
	v_cndmask_b32_e64 v29, v248, v250, s[74:75]                // 00000000862C: D100001D 012BF5F8
	v_perm_b32 v73, v29, v28, s64                              // 000000008634: D1ED0049 0102391D
	v_cmp_u_f32_e64 s[74:75], v76, v76                         // 00000000863C: D048004A 0002994C
	v_add3_u32 v248, v76, v251, 1                              // 000000008644: D1FF00F8 0207F74C
	v_cndmask_b32_e64 v28, v248, v250, s[74:75]                // 00000000864C: D100001C 012BF5F8
	v_cmp_u_f32_e64 s[74:75], v77, v77                         // 000000008654: D048004A 00029B4D
	v_add3_u32 v248, v77, v251, 1                              // 00000000865C: D1FF00F8 0207F74D
	v_cndmask_b32_e64 v29, v248, v250, s[74:75]                // 000000008664: D100001D 012BF5F8
	v_perm_b32 v74, v29, v28, s64                              // 00000000866C: D1ED004A 0102391D
	v_mfma_f32_16x16x16_bf16 v[172:175], v[118:119], v[144:145], v[172:175]// 000000008674: D3E100AC 06B32176
	v_mov_b32_dpp v18, v72 quad_perm:[1,0,3,2] row_mask:0xf bank_mask:0xf// 00000000867C: 7E2402FA FF00B148
	v_perm_b32 v48, v18, v72, v17                              // 000000008684: D1ED0030 04469112
	v_mov_b32_dpp v18, v73 quad_perm:[1,0,3,2] row_mask:0xf bank_mask:0xf// 00000000868C: 7E2402FA FF00B149
	v_mfma_f32_16x16x16_bf16 v[176:179], v[120:121], v[144:145], v[176:179]// 000000008694: D3E100B0 06C32178
	ds_write_b32 v20, v48 offset:17408                         // 00000000869C: D81A4400 00003014
	v_mfma_f32_16x16x16_bf16 v[180:183], v[122:123], v[144:145], v[180:183]// 0000000086A4: D3E100B4 06D3217A
	v_perm_b32 v49, v18, v73, v17                              // 0000000086AC: D1ED0031 04469312
	v_mov_b32_dpp v18, v74 quad_perm:[1,0,3,2] row_mask:0xf bank_mask:0xf// 0000000086B4: 7E2402FA FF00B14A
	v_perm_b32 v50, v18, v74, v17                              // 0000000086BC: D1ED0032 04469512
	v_mfma_f32_16x16x16_bf16 v[184:187], v[108:109], v[146:147], v[184:187]// 0000000086C4: D3E100B8 06E3256C
	ds_write_b32 v20, v49 offset:17952                         // 0000000086CC: D81A4620 00003114
	v_mfma_f32_16x16x16_bf16 v[188:191], v[110:111], v[146:147], v[188:191]// 0000000086D4: D3E100BC 06F3256E
	v_subrev_f32_dpp v78, v150, v78 quad_perm:[2,2,2,2] row_mask:0xf bank_mask:0xf// 0000000086DC: 069C9CFA FF00AA96
	v_subrev_f32_dpp v79, v150, v79 quad_perm:[3,3,3,3] row_mask:0xf bank_mask:0xf// 0000000086E4: 069E9EFA FF00FF96
	v_subrev_f32_dpp v80, v150, v80 quad_perm:[0,0,0,0] row_mask:0xf bank_mask:0xf// 0000000086EC: 06A0A0FA FF000096
	v_mfma_f32_16x16x16_bf16 v[192:195], v[112:113], v[146:147], v[192:195]// 0000000086F4: D3E100C0 07032570
	ds_write_b32 v20, v50 offset:19712                         // 0000000086FC: D81A4D00 00003214
	v_mfma_f32_16x16x16_bf16 v[196:199], v[114:115], v[146:147], v[196:199]// 000000008704: D3E100C4 07132572
	v_subrev_f32_dpp v81, v150, v81 quad_perm:[1,1,1,1] row_mask:0xf bank_mask:0xf// 00000000870C: 06A2A2FA FF005596
	v_subrev_f32_dpp v82, v150, v82 quad_perm:[2,2,2,2] row_mask:0xf bank_mask:0xf// 000000008714: 06A4A4FA FF00AA96
	v_subrev_f32_dpp v83, v150, v83 quad_perm:[3,3,3,3] row_mask:0xf bank_mask:0xf// 00000000871C: 06A6A6FA FF00FF96
	v_mfma_f32_16x16x16_bf16 v[200:203], v[116:117], v[146:147], v[200:203]// 000000008724: D3E100C8 07232574
	v_mul_f32_e32 v78, v54, v78                                // 00000000872C: 0A9C9D36
	v_mul_f32_e32 v79, v55, v79                                // 000000008730: 0A9E9F37
	v_mul_f32_e32 v80, v56, v80                                // 000000008734: 0AA0A138
	v_mfma_f32_16x16x16_bf16 v[204:207], v[118:119], v[146:147], v[204:207]// 000000008738: D3E100CC 07332576
	v_mul_f32_e32 v81, v57, v81                                // 000000008740: 0AA2A339
	v_mul_f32_e32 v82, v58, v82                                // 000000008744: 0AA4A53A
	v_mul_f32_e32 v83, v59, v83                                // 000000008748: 0AA6A73B
	v_mfma_f32_16x16x16_bf16 v[208:211], v[120:121], v[146:147], v[208:211]// 00000000874C: D3E100D0 07432578
	v_cmp_u_f32_e64 s[74:75], v78, v78                         // 000000008754: D048004A 00029D4E
	v_add3_u32 v248, v78, v251, 1                              // 00000000875C: D1FF00F8 0207F74E
	v_cndmask_b32_e64 v28, v248, v250, s[74:75]                // 000000008764: D100001C 012BF5F8
	v_cmp_u_f32_e64 s[74:75], v79, v79                         // 00000000876C: D048004A 00029F4F
	v_add3_u32 v248, v79, v251, 1                              // 000000008774: D1FF00F8 0207F74F
	v_cndmask_b32_e64 v29, v248, v250, s[74:75]                // 00000000877C: D100001D 012BF5F8
	v_perm_b32 v75, v29, v28, s64                              // 000000008784: D1ED004B 0102391D
	v_cmp_u_f32_e64 s[74:75], v80, v80                         // 00000000878C: D048004A 0002A150
	v_add3_u32 v248, v80, v251, 1                              // 000000008794: D1FF00F8 0207F750
	v_cndmask_b32_e64 v28, v248, v250, s[74:75]                // 00000000879C: D100001C 012BF5F8
	v_cmp_u_f32_e64 s[74:75], v81, v81                         // 0000000087A4: D048004A 0002A351
	v_add3_u32 v248, v81, v251, 1                              // 0000000087AC: D1FF00F8 0207F751
	v_cndmask_b32_e64 v29, v248, v250, s[74:75]                // 0000000087B4: D100001D 012BF5F8
	v_perm_b32 v76, v29, v28, s64                              // 0000000087BC: D1ED004C 0102391D
	v_cmp_u_f32_e64 s[74:75], v82, v82                         // 0000000087C4: D048004A 0002A552
	v_add3_u32 v248, v82, v251, 1                              // 0000000087CC: D1FF00F8 0207F752
	v_cndmask_b32_e64 v28, v248, v250, s[74:75]                // 0000000087D4: D100001C 012BF5F8
	v_cmp_u_f32_e64 s[74:75], v83, v83                         // 0000000087DC: D048004A 0002A753
	v_add3_u32 v248, v83, v251, 1                              // 0000000087E4: D1FF00F8 0207F753
	v_cndmask_b32_e64 v29, v248, v250, s[74:75]                // 0000000087EC: D100001D 012BF5F8
	v_perm_b32 v77, v29, v28, s64                              // 0000000087F4: D1ED004D 0102391D
	v_mfma_f32_16x16x16_bf16 v[212:215], v[122:123], v[146:147], v[212:215]// 0000000087FC: D3E100D4 0753257A
	v_mov_b32_dpp v18, v75 quad_perm:[1,0,3,2] row_mask:0xf bank_mask:0xf// 000000008804: 7E2402FA FF00B14B
	v_perm_b32 v51, v18, v75, v17                              // 00000000880C: D1ED0033 04469712
	v_mov_b32_dpp v18, v76 quad_perm:[1,0,3,2] row_mask:0xf bank_mask:0xf// 000000008814: 7E2402FA FF00B14C
	v_mfma_f32_16x16x16_bf16 v[216:219], v[108:109], v[148:149], v[216:219]// 00000000881C: D3E100D8 0763296C
	ds_write_b32 v20, v51 offset:20256                         // 000000008824: D81A4F20 00003314
	v_mfma_f32_16x16x16_bf16 v[220:223], v[110:111], v[148:149], v[220:223]// 00000000882C: D3E100DC 0773296E
	v_perm_b32 v52, v18, v76, v17                              // 000000008834: D1ED0034 04469912
	v_mov_b32_dpp v18, v77 quad_perm:[1,0,3,2] row_mask:0xf bank_mask:0xf// 00000000883C: 7E2402FA FF00B14D
	v_perm_b32 v53, v18, v77, v17                              // 000000008844: D1ED0035 04469B12
	v_mfma_f32_16x16x16_bf16 v[224:227], v[112:113], v[148:149], v[224:227]// 00000000884C: D3E100E0 07832970
	ds_write_b32 v20, v52 offset:22016                         // 000000008854: D81A5600 00003414
	ds_write_b32 v20, v53 offset:22560                         // 00000000885C: D81A5820 00003514
	v_mfma_f32_16x16x16_bf16 v[228:231], v[114:115], v[148:149], v[228:231]// 000000008864: D3E100E4 07932972
	v_mfma_f32_16x16x16_bf16 v[232:235], v[116:117], v[148:149], v[232:235]// 00000000886C: D3E100E8 07A32974
	ds_write_b32 v15, v84 offset:4352                          // 000000008874: D81A1100 0000540F
	ds_write_b32 v15, v85 offset:5408                          // 00000000887C: D81A1520 0000550F
	v_mfma_f32_16x16x16_bf16 v[236:239], v[118:119], v[148:149], v[236:239]// 000000008884: D3E100EC 07B32976
	v_mfma_f32_16x16x16_bf16 v[240:243], v[120:121], v[148:149], v[240:243]// 00000000888C: D3E100F0 07C32978
	ds_write_b32 v15, v86 offset:4480                          // 000000008894: D81A1180 0000560F
	ds_write_b32 v15, v87 offset:5536                          // 00000000889C: D81A15A0 0000570F
	v_mfma_f32_16x16x16_bf16 v[244:247], v[122:123], v[148:149], v[244:247]// 0000000088A4: D3E100F4 07D3297A
	s_nop 0                                                    // 0000000088AC: BF800000
	s_nop 0                                                    // 0000000088B0: BF800000
	s_nop 0                                                    // 0000000088B4: BF800000
	s_barrier                                                  // 0000000088B8: BF8A0000
	v_mfma_f32_16x16x16_bf16 a[160:163], a[144:145], v[72:73], a[160:163]// 0000000088BC: D3E180A0 0E829190
	ds_read_b32 v124, v23 offset:50688                         // 0000000088C4: D86CC600 7C000017
	ds_read_b32 v150, v23 offset:50944                         // 0000000088CC: D86CC700 96000017
	v_mfma_f32_16x16x16_bf16 a[164:167], a[146:147], v[72:73], a[164:167]// 0000000088D4: D3E180A4 0E929192
	global_atomic_pk_add_bf16 v6, v136, s[32:33]               // 0000000088DC: DD488000 00208806
	v_mfma_f32_16x16x16_bf16 a[168:171], a[148:149], v[72:73], a[168:171]// 0000000088E4: D3E180A8 0EA29194
	s_waitcnt lgkmcnt(6)                                       // 0000000088EC: BF8CC67F
	s_barrier                                                  // 0000000088F0: BF8A0000
	v_mfma_f32_16x16x16_bf16 a[172:175], a[150:151], v[72:73], a[172:175]// 0000000088F4: D3E180AC 0EB29196
	v_mfma_f32_16x16x16_bf16 a[176:179], a[152:153], v[72:73], a[176:179]// 0000000088FC: D3E180B0 0EC29198
	ds_read_b128 v[48:51], v19 offset:17408                    // 000000008904: D9FE4400 30000013
	v_mfma_f32_16x16x16_bf16 a[180:183], a[154:155], v[72:73], a[180:183]// 00000000890C: D3E180B4 0ED2919A
	v_mfma_f32_16x16x16_bf16 a[184:187], a[156:157], v[72:73], a[184:187]// 000000008914: D3E180B8 0EE2919C
	ds_read_b128 v[52:55], v19 offset:18560                    // 00000000891C: D9FE4880 34000013
	v_mfma_f32_16x16x16_bf16 a[188:191], a[158:159], v[72:73], a[188:191]// 000000008924: D3E180BC 0EF2919E
	global_atomic_pk_add_bf16 v8, v137, s[32:33]               // 00000000892C: DD488000 00208908
	v_mfma_f32_16x16x16_bf16 a[192:195], a[144:145], v[74:75], a[192:195]// 000000008934: D3E180C0 0F029590
	ds_read_b128 v[56:59], v19 offset:19712                    // 00000000893C: D9FE4D00 38000013
	v_mfma_f32_16x16x16_bf16 a[196:199], a[146:147], v[74:75], a[196:199]// 000000008944: D3E180C4 0F129592
	v_mfma_f32_16x16x16_bf16 a[200:203], a[148:149], v[74:75], a[200:203]// 00000000894C: D3E180C8 0F229594
	ds_read_b128 v[60:63], v19 offset:20864                    // 000000008954: D9FE5180 3C000013
	v_mfma_f32_16x16x16_bf16 a[204:207], a[150:151], v[74:75], a[204:207]// 00000000895C: D3E180CC 0F329596
	v_mfma_f32_16x16x16_bf16 a[208:211], a[152:153], v[74:75], a[208:211]// 000000008964: D3E180D0 0F429598
	ds_read_b128 v[64:67], v19 offset:22016                    // 00000000896C: D9FE5600 40000013
	v_mfma_f32_16x16x16_bf16 a[212:215], a[154:155], v[74:75], a[212:215]// 000000008974: D3E180D4 0F52959A
	global_atomic_pk_add_bf16 v6, v138, s[32:33] offset:128    // 00000000897C: DD488080 00208A06
	v_mfma_f32_16x16x16_bf16 a[216:219], a[156:157], v[74:75], a[216:219]// 000000008984: D3E180D8 0F62959C
	ds_read_b128 v[68:71], v19 offset:23168                    // 00000000898C: D9FE5A80 44000013
	v_mfma_f32_16x16x16_bf16 a[220:223], a[158:159], v[74:75], a[220:223]// 000000008994: D3E180DC 0F72959E
	v_mfma_f32_16x16x16_bf16 a[224:227], a[144:145], v[76:77], a[224:227]// 00000000899C: D3E180E0 0F829990
	ds_write_b32 v15, v88 offset:13056                         // 0000000089A4: D81A3300 0000580F
	v_mfma_f32_16x16x16_bf16 a[228:231], a[146:147], v[76:77], a[228:231]// 0000000089AC: D3E180E4 0F929992
	v_mfma_f32_16x16x16_bf16 a[232:235], a[148:149], v[76:77], a[232:235]// 0000000089B4: D3E180E8 0FA29994
	ds_write_b32 v15, v89 offset:14112                         // 0000000089BC: D81A3720 0000590F
	v_mfma_f32_16x16x16_bf16 a[236:239], a[150:151], v[76:77], a[236:239]// 0000000089C4: D3E180EC 0FB29996
	global_atomic_pk_add_bf16 v8, v139, s[32:33] offset:128    // 0000000089CC: DD488080 00208B08
	v_mfma_f32_16x16x16_bf16 a[240:243], a[152:153], v[76:77], a[240:243]// 0000000089D4: D3E180F0 0FC29998
	ds_write_b32 v15, v90 offset:13184                         // 0000000089DC: D81A3380 00005A0F
	v_mfma_f32_16x16x16_bf16 a[244:247], a[154:155], v[76:77], a[244:247]// 0000000089E4: D3E180F4 0FD2999A
	v_mfma_f32_16x16x16_bf16 a[248:251], a[156:157], v[76:77], a[248:251]// 0000000089EC: D3E180F8 0FE2999C
	ds_write_b32 v15, v91 offset:14240                         // 0000000089F4: D81A37A0 00005B0F
	v_mfma_f32_16x16x16_bf16 a[252:255], a[158:159], v[76:77], a[252:255]// 0000000089FC: D3E180FC 0FF2999E
	s_waitcnt vmcnt(4) lgkmcnt(4)                              // 000000008A04: BF8C0474
	s_barrier                                                  // 000000008A08: BF8A0000
	v_mfma_f32_16x16x16_bf16 v[128:131], a[48:49], v[48:49], 0 // 000000008A0C: D3E10080 0A026130
	ds_read_b128 a[144:147], v12                               // 000000008A14: DBFE0000 9000000C
	buffer_load_dword v32, v1, s[8:11], 0 idxen                // 000000008A1C: E0502000 80022001
	v_mfma_f32_16x16x16_bf16 v[128:131], a[52:53], v[50:51], v[128:131]// 000000008A24: D3E10080 0E026534
	v_mul_f32_e32 v124, s49, v124                              // 000000008A2C: 0AF8F831
	s_nop 0                                                    // 000000008A30: BF800000
	v_mfma_f32_16x16x16_bf16 v[128:131], a[56:57], v[52:53], v[128:131]// 000000008A34: D3E10080 0E026938
	ds_read_b128 a[148:151], v12 offset:512                    // 000000008A3C: DBFE0200 9400000C
	buffer_load_dword v33, v2, s[8:11], 0 idxen                // 000000008A44: E0502000 80022102
	v_mfma_f32_16x16x16_bf16 v[128:131], a[60:61], v[54:55], v[128:131]// 000000008A4C: D3E10080 0E026D3C
	v_mfma_f32_16x16x16_bf16 v[128:131], a[64:65], v[56:57], v[128:131]// 000000008A54: D3E10080 0E027140
	ds_read_b128 a[152:155], v12 offset:2176                   // 000000008A5C: DBFE0880 9800000C
	buffer_load_dword v34, v3, s[8:11], 0 idxen                // 000000008A64: E0502000 80022203
	v_mfma_f32_16x16x16_bf16 v[128:131], a[68:69], v[58:59], v[128:131]// 000000008A6C: D3E10080 0E027544
	v_perm_b32 v84, v37, v36, s63                              // 000000008A74: D1ED0054 00FE4925
	v_perm_b32 v85, v37, v36, s64                              // 000000008A7C: D1ED0055 01024925
	v_mfma_f32_16x16x16_bf16 v[128:131], a[72:73], v[60:61], v[128:131]// 000000008A84: D3E10080 0E027948
	ds_read_b128 a[156:159], v12 offset:2688                   // 000000008A8C: DBFE0A80 9C00000C
	buffer_load_dword v35, v4, s[8:11], 0 idxen                // 000000008A94: E0502000 80022304
	v_mfma_f32_16x16x16_bf16 v[128:131], a[76:77], v[62:63], v[128:131]// 000000008A9C: D3E10080 0E027D4C
	v_perm_b32 v86, v39, v38, s63                              // 000000008AA4: D1ED0056 00FE4D27
	v_perm_b32 v87, v39, v38, s64                              // 000000008AAC: D1ED0057 01024D27
	v_mfma_f32_16x16x16_bf16 v[128:131], a[80:81], v[64:65], v[128:131]// 000000008AB4: D3E10080 0E028150
	ds_read_b128 v[92:95], v12 offset:8704                     // 000000008ABC: D9FE2200 5C00000C
	buffer_load_dword v40, v1, s[20:23], 0 idxen               // 000000008AC4: E0502000 80052801
	v_mfma_f32_16x16x16_bf16 v[128:131], a[84:85], v[66:67], v[128:131]// 000000008ACC: D3E10080 0E028554
	v_perm_b32 v88, v45, v44, s63                              // 000000008AD4: D1ED0058 00FE592D
	v_perm_b32 v89, v45, v44, s64                              // 000000008ADC: D1ED0059 0102592D
	v_mfma_f32_16x16x16_bf16 v[128:131], a[88:89], v[68:69], v[128:131]// 000000008AE4: D3E10080 0E028958
	ds_read_b128 v[96:99], v12 offset:9216                     // 000000008AEC: D9FE2400 6000000C
	buffer_load_dword v41, v2, s[20:23], 0 idxen               // 000000008AF4: E0502000 80052902
	v_mfma_f32_16x16x16_bf16 v[128:131], a[92:93], v[70:71], v[128:131]// 000000008AFC: D3E10080 0E028D5C
	v_perm_b32 v90, v47, v46, s63                              // 000000008B04: D1ED005A 00FE5D2F
	v_perm_b32 v91, v47, v46, s64                              // 000000008B0C: D1ED005B 01025D2F
	v_mfma_f32_16x16x16_bf16 v[132:135], a[50:51], v[48:49], 0 // 000000008B14: D3E10084 0A026132
	ds_read_b128 v[100:103], v12 offset:10880                  // 000000008B1C: D9FE2A80 6400000C
	buffer_load_dword v42, v3, s[20:23], 0 idxen               // 000000008B24: E0502000 80052A03
	v_mfma_f32_16x16x16_bf16 v[132:135], a[54:55], v[50:51], v[132:135]// 000000008B2C: D3E10084 0E126536
	v_mov_b32_dpp v127, v124 quad_perm:[3,3,3,3] row_mask:0xf bank_mask:0xf// 000000008B34: 7EFE02FA FF00FF7C
	v_mov_b32_dpp v126, v124 quad_perm:[2,2,2,2] row_mask:0xf bank_mask:0xf// 000000008B3C: 7EFC02FA FF00AA7C
	v_mfma_f32_16x16x16_bf16 v[132:135], a[58:59], v[52:53], v[132:135]// 000000008B44: D3E10084 0E12693A
	ds_read_b128 v[104:107], v12 offset:11392                  // 000000008B4C: D9FE2C80 6800000C
	buffer_load_dword v43, v4, s[20:23], 0 idxen               // 000000008B54: E0502000 80052B04
	v_mfma_f32_16x16x16_bf16 v[132:135], a[62:63], v[54:55], v[132:135]// 000000008B5C: D3E10084 0E126D3E
	v_mov_b32_dpp v125, v124 quad_perm:[1,1,1,1] row_mask:0xf bank_mask:0xf// 000000008B64: 7EFA02FA FF00557C
	v_mov_b32_dpp v124, v124 quad_perm:[0,0,0,0] row_mask:0xf bank_mask:0xf// 000000008B6C: 7EF802FA FF00007C
	s_add_u32 s60, 64, s59                                     // 000000008B74: 803C3BC0
	v_mfma_f32_16x16x16_bf16 v[132:135], a[66:67], v[56:57], v[132:135]// 000000008B78: D3E10084 0E127142
	buffer_load_dword v11, s[24:27], 0 idxen lds               // 000000008B80: E0512000 8006000B
	v_mfma_f32_16x16x16_bf16 v[132:135], a[70:71], v[58:59], v[132:135]// 000000008B88: D3E10084 0E127546
	s_cmp_lt_u32 s60, s58                                      // 000000008B90: BF0A3A3C
	s_cselect_b32 s68, s68, 0                                  // 000000008B94: 85448044
	s_cselect_b32 s69, s69, 0                                  // 000000008B98: 85458045
	v_mfma_f32_16x16x16_bf16 v[132:135], a[74:75], v[60:61], v[132:135]// 000000008B9C: D3E10084 0E12794A
	s_add_u32 s8, s68, s8                                      // 000000008BA4: 80080844
	s_addc_u32 s9, 0, s9                                       // 000000008BA8: 82090980
	v_mfma_f32_16x16x16_bf16 v[132:135], a[78:79], v[62:63], v[132:135]// 000000008BAC: D3E10084 0E127D4E
	s_add_u32 s20, s68, s20                                    // 000000008BB4: 80141444
	s_addc_u32 s21, 0, s21                                     // 000000008BB8: 82151580
	v_mfma_f32_16x16x16_bf16 v[132:135], a[82:83], v[64:65], v[132:135]// 000000008BBC: D3E10084 0E128152
	s_mov_b32 m0, s77                                          // 000000008BC4: BEFC004D
	v_add_u32_e32 v11, s69, v11                                // 000000008BC8: 68161645
	v_mfma_f32_16x16x16_bf16 v[132:135], a[86:87], v[66:67], v[132:135]// 000000008BCC: D3E10084 0E128556
	s_cmp_ge_u32 s59, 16                                       // 000000008BD4: BF09903B
	s_cselect_b32 s66, s67, s66                                // 000000008BD8: 85424243
	v_mfma_f32_16x16x16_bf16 v[132:135], a[90:91], v[68:69], v[132:135]// 000000008BDC: D3E10084 0E12895A
	s_addk_i32 s59, 0x10                                       // 000000008BE4: B73B0010
	s_nop 0                                                    // 000000008BE8: BF800000
	s_cmp_lt_i32 s59, s58                                      // 000000008BEC: BF043A3B
	v_mfma_f32_16x16x16_bf16 v[132:135], a[94:95], v[70:71], v[132:135]// 000000008BF0: D3E10084 0E128D5E
	s_cbranch_scc0 label_0D72                                  // 000000008BF8: BF84F9F3
	s_branch label_0D75                                        // 000000008BFC: BF82F9F5

0000000000008c00 <label_1380>:
	s_add_u32 s32, s66, s32                                    // 000000008C00: 80202042
	s_addc_u32 s33, 0, s33                                     // 000000008C04: 82212180
	v_lshrrev_b32_e32 v28, 5, v0                               // 000000008C08: 20380085
	v_mul_i32_i24_e32 v27, 0x42, v28                           // 000000008C0C: 0C3638FF 00000042
	v_and_b32_e32 v28, 31, v0                                  // 000000008C14: 2638009F
	v_mul_i32_i24_e32 v29, 2, v28                              // 000000008C18: 0C3A3882
	v_add_u32_e32 v27, v29, v27                                // 000000008C1C: 6836371D
	s_mul_i32 s60, s47, 0x420                                  // 000000008C20: 923CFF2F 00000420
	v_add_u32_e32 v27, s60, v27                                // 000000008C28: 6836363C
	v_lshlrev_b32_e32 v27, 2, v27                              // 000000008C2C: 24363682
	v_mul_f32_e32 v128, s48, v128                              // 000000008C30: 0B010030
	v_mul_f32_e32 v129, s48, v129                              // 000000008C34: 0B030230
	v_mul_f32_e32 v130, s48, v130                              // 000000008C38: 0B050430
	v_mul_f32_e32 v131, s48, v131                              // 000000008C3C: 0B070630
	v_mul_f32_e32 v132, s48, v132                              // 000000008C40: 0B090830
	v_mul_f32_e32 v133, s48, v133                              // 000000008C44: 0B0B0A30
	v_mul_f32_e32 v134, s48, v134                              // 000000008C48: 0B0D0C30
	v_mul_f32_e32 v135, s48, v135                              // 000000008C4C: 0B0F0E30
	v_cmp_u_f32_e64 s[74:75], v128, v128                       // 000000008C50: D048004A 00030180
	v_add3_u32 v248, v128, v251, 1                             // 000000008C58: D1FF00F8 0207F780
	v_cndmask_b32_e64 v28, v248, v250, s[74:75]                // 000000008C60: D100001C 012BF5F8
	v_cmp_u_f32_e64 s[74:75], v129, v129                       // 000000008C68: D048004A 00030381
	v_add3_u32 v248, v129, v251, 1                             // 000000008C70: D1FF00F8 0207F781
	v_cndmask_b32_e64 v29, v248, v250, s[74:75]                // 000000008C78: D100001D 012BF5F8
	v_perm_b32 v128, v29, v28, s64                             // 000000008C80: D1ED0080 0102391D
	v_cmp_u_f32_e64 s[74:75], v130, v130                       // 000000008C88: D048004A 00030582
	v_add3_u32 v248, v130, v251, 1                             // 000000008C90: D1FF00F8 0207F782
	v_cndmask_b32_e64 v28, v248, v250, s[74:75]                // 000000008C98: D100001C 012BF5F8
	v_cmp_u_f32_e64 s[74:75], v131, v131                       // 000000008CA0: D048004A 00030783
	v_add3_u32 v248, v131, v251, 1                             // 000000008CA8: D1FF00F8 0207F783
	v_cndmask_b32_e64 v29, v248, v250, s[74:75]                // 000000008CB0: D100001D 012BF5F8
	v_perm_b32 v129, v29, v28, s64                             // 000000008CB8: D1ED0081 0102391D
	v_cmp_u_f32_e64 s[74:75], v132, v132                       // 000000008CC0: D048004A 00030984
	v_add3_u32 v248, v132, v251, 1                             // 000000008CC8: D1FF00F8 0207F784
	v_cndmask_b32_e64 v28, v248, v250, s[74:75]                // 000000008CD0: D100001C 012BF5F8
	v_cmp_u_f32_e64 s[74:75], v133, v133                       // 000000008CD8: D048004A 00030B85
	v_add3_u32 v248, v133, v251, 1                             // 000000008CE0: D1FF00F8 0207F785
	v_cndmask_b32_e64 v29, v248, v250, s[74:75]                // 000000008CE8: D100001D 012BF5F8
	v_perm_b32 v130, v29, v28, s64                             // 000000008CF0: D1ED0082 0102391D
	v_cmp_u_f32_e64 s[74:75], v134, v134                       // 000000008CF8: D048004A 00030D86
	v_add3_u32 v248, v134, v251, 1                             // 000000008D00: D1FF00F8 0207F786
	v_cndmask_b32_e64 v28, v248, v250, s[74:75]                // 000000008D08: D100001C 012BF5F8
	v_cmp_u_f32_e64 s[74:75], v135, v135                       // 000000008D10: D048004A 00030F87
	v_add3_u32 v248, v135, v251, 1                             // 000000008D18: D1FF00F8 0207F787
	v_cndmask_b32_e64 v29, v248, v250, s[74:75]                // 000000008D20: D100001D 012BF5F8
	v_perm_b32 v131, v29, v28, s64                             // 000000008D28: D1ED0083 0102391D
	ds_write_b64 v22, v[128:129] offset:24320                  // 000000008D30: D89A5F00 00008016
	ds_write_b64 v22, v[130:131] offset:24864                  // 000000008D38: D89A6120 00008216
	s_waitcnt lgkmcnt(0)                                       // 000000008D40: BF8CC07F
	s_barrier                                                  // 000000008D44: BF8A0000
	ds_read_b32 v136, v21 offset:24320                         // 000000008D48: D86C5F00 88000015
	ds_read_b32 v137, v21 offset:24336                         // 000000008D50: D86C5F10 89000015
	ds_read_b32 v138, v21 offset:26496                         // 000000008D58: D86C6780 8A000015
	ds_read_b32 v139, v21 offset:26512                         // 000000008D60: D86C6790 8B000015
	s_waitcnt lgkmcnt(0)                                       // 000000008D68: BF8CC07F
	s_barrier                                                  // 000000008D6C: BF8A0000
	global_atomic_pk_add_bf16 v6, v136, s[32:33]               // 000000008D70: DD488000 00208806
	global_atomic_pk_add_bf16 v8, v137, s[32:33]               // 000000008D78: DD488000 00208908
	global_atomic_pk_add_bf16 v6, v138, s[32:33] offset:128    // 000000008D80: DD488080 00208A06
	global_atomic_pk_add_bf16 v8, v139, s[32:33] offset:128    // 000000008D88: DD488080 00208B08
	v_lshrrev_b32_e32 v28, 4, v0                               // 000000008D90: 20380084
	v_mul_i32_i24_e32 v26, 2, v28                              // 000000008D94: 0C343882
	v_and_b32_e32 v28, 15, v0                                  // 000000008D98: 2638008F
	v_mul_i32_i24_e32 v29, 0x42, v28                           // 000000008D9C: 0C3A38FF 00000042
	v_add_u32_e32 v26, v29, v26                                // 000000008DA4: 6834351D
	s_mul_i32 s60, s47, 0x420                                  // 000000008DA8: 923CFF2F 00000420
	v_add_u32_e32 v26, s60, v26                                // 000000008DB0: 6834343C
	v_lshlrev_b32_e32 v26, 2, v26                              // 000000008DB4: 24343482
	v_accvgpr_read_b32 v30, a160                               // 000000008DB8: D3D8401E 180001A0
	v_accvgpr_read_b32 v31, a161                               // 000000008DC0: D3D8401F 180001A1
	v_mul_f32_e32 v30, s48, v30                                // 000000008DC8: 0A3C3C30
	v_mul_f32_e32 v31, s48, v31                                // 000000008DCC: 0A3E3E30
	v_cmp_u_f32_e64 s[74:75], v30, v30                         // 000000008DD0: D048004A 00023D1E
	v_bfe_u32 v248, v30, 16, 1                                 // 000000008DD8: D1C800F8 0205211E
	v_add3_u32 v248, v30, v248, v251                           // 000000008DE0: D1FF00F8 07EFF11E
	v_cndmask_b32_e64 v28, v248, v250, s[74:75]                // 000000008DE8: D100001C 012BF5F8
	v_lshrrev_b32_e32 v28, 16, v28                             // 000000008DF0: 20383890
	v_cmp_u_f32_e64 s[74:75], v31, v31                         // 000000008DF4: D048004A 00023F1F
	v_bfe_u32 v248, v31, 16, 1                                 // 000000008DFC: D1C800F8 0205211F
	v_add3_u32 v248, v31, v248, v251                           // 000000008E04: D1FF00F8 07EFF11F
	v_cndmask_b32_e64 v29, v248, v250, s[74:75]                // 000000008E0C: D100001D 012BF5F8
	v_and_or_b32 v48, v29, v249, v28                           // 000000008E14: D2010030 0473F31D
	v_accvgpr_read_b32 v30, a162                               // 000000008E1C: D3D8401E 180001A2
	v_accvgpr_read_b32 v31, a163                               // 000000008E24: D3D8401F 180001A3
	v_mul_f32_e32 v30, s48, v30                                // 000000008E2C: 0A3C3C30
	v_mul_f32_e32 v31, s48, v31                                // 000000008E30: 0A3E3E30
	v_cmp_u_f32_e64 s[74:75], v30, v30                         // 000000008E34: D048004A 00023D1E
	v_bfe_u32 v248, v30, 16, 1                                 // 000000008E3C: D1C800F8 0205211E
	v_add3_u32 v248, v30, v248, v251                           // 000000008E44: D1FF00F8 07EFF11E
	v_cndmask_b32_e64 v28, v248, v250, s[74:75]                // 000000008E4C: D100001C 012BF5F8
	v_lshrrev_b32_e32 v28, 16, v28                             // 000000008E54: 20383890
	v_cmp_u_f32_e64 s[74:75], v31, v31                         // 000000008E58: D048004A 00023F1F
	v_bfe_u32 v248, v31, 16, 1                                 // 000000008E60: D1C800F8 0205211F
	v_add3_u32 v248, v31, v248, v251                           // 000000008E68: D1FF00F8 07EFF11F
	v_cndmask_b32_e64 v29, v248, v250, s[74:75]                // 000000008E70: D100001D 012BF5F8
	v_and_or_b32 v49, v29, v249, v28                           // 000000008E78: D2010031 0473F31D
	v_accvgpr_read_b32 v30, a164                               // 000000008E80: D3D8401E 180001A4
	v_accvgpr_read_b32 v31, a165                               // 000000008E88: D3D8401F 180001A5
	v_mul_f32_e32 v30, s48, v30                                // 000000008E90: 0A3C3C30
	v_mul_f32_e32 v31, s48, v31                                // 000000008E94: 0A3E3E30
	v_cmp_u_f32_e64 s[74:75], v30, v30                         // 000000008E98: D048004A 00023D1E
	v_bfe_u32 v248, v30, 16, 1                                 // 000000008EA0: D1C800F8 0205211E
	v_add3_u32 v248, v30, v248, v251                           // 000000008EA8: D1FF00F8 07EFF11E
	v_cndmask_b32_e64 v28, v248, v250, s[74:75]                // 000000008EB0: D100001C 012BF5F8
	v_lshrrev_b32_e32 v28, 16, v28                             // 000000008EB8: 20383890
	v_cmp_u_f32_e64 s[74:75], v31, v31                         // 000000008EBC: D048004A 00023F1F
	v_bfe_u32 v248, v31, 16, 1                                 // 000000008EC4: D1C800F8 0205211F
	v_add3_u32 v248, v31, v248, v251                           // 000000008ECC: D1FF00F8 07EFF11F
	v_cndmask_b32_e64 v29, v248, v250, s[74:75]                // 000000008ED4: D100001D 012BF5F8
	v_and_or_b32 v50, v29, v249, v28                           // 000000008EDC: D2010032 0473F31D
	v_accvgpr_read_b32 v30, a166                               // 000000008EE4: D3D8401E 180001A6
	v_accvgpr_read_b32 v31, a167                               // 000000008EEC: D3D8401F 180001A7
	v_mul_f32_e32 v30, s48, v30                                // 000000008EF4: 0A3C3C30
	v_mul_f32_e32 v31, s48, v31                                // 000000008EF8: 0A3E3E30
	v_cmp_u_f32_e64 s[74:75], v30, v30                         // 000000008EFC: D048004A 00023D1E
	v_bfe_u32 v248, v30, 16, 1                                 // 000000008F04: D1C800F8 0205211E
	v_add3_u32 v248, v30, v248, v251                           // 000000008F0C: D1FF00F8 07EFF11E
	v_cndmask_b32_e64 v28, v248, v250, s[74:75]                // 000000008F14: D100001C 012BF5F8
	v_lshrrev_b32_e32 v28, 16, v28                             // 000000008F1C: 20383890
	v_cmp_u_f32_e64 s[74:75], v31, v31                         // 000000008F20: D048004A 00023F1F
	v_bfe_u32 v248, v31, 16, 1                                 // 000000008F28: D1C800F8 0205211F
	v_add3_u32 v248, v31, v248, v251                           // 000000008F30: D1FF00F8 07EFF11F
	v_cndmask_b32_e64 v29, v248, v250, s[74:75]                // 000000008F38: D100001D 012BF5F8
	v_and_or_b32 v51, v29, v249, v28                           // 000000008F40: D2010033 0473F31D
	v_accvgpr_read_b32 v30, a168                               // 000000008F48: D3D8401E 180001A8
	v_accvgpr_read_b32 v31, a169                               // 000000008F50: D3D8401F 180001A9
	v_mul_f32_e32 v30, s48, v30                                // 000000008F58: 0A3C3C30
	v_mul_f32_e32 v31, s48, v31                                // 000000008F5C: 0A3E3E30
	v_cmp_u_f32_e64 s[74:75], v30, v30                         // 000000008F60: D048004A 00023D1E
	v_bfe_u32 v248, v30, 16, 1                                 // 000000008F68: D1C800F8 0205211E
	v_add3_u32 v248, v30, v248, v251                           // 000000008F70: D1FF00F8 07EFF11E
	v_cndmask_b32_e64 v28, v248, v250, s[74:75]                // 000000008F78: D100001C 012BF5F8
	v_lshrrev_b32_e32 v28, 16, v28                             // 000000008F80: 20383890
	v_cmp_u_f32_e64 s[74:75], v31, v31                         // 000000008F84: D048004A 00023F1F
	v_bfe_u32 v248, v31, 16, 1                                 // 000000008F8C: D1C800F8 0205211F
	v_add3_u32 v248, v31, v248, v251                           // 000000008F94: D1FF00F8 07EFF11F
	v_cndmask_b32_e64 v29, v248, v250, s[74:75]                // 000000008F9C: D100001D 012BF5F8
	v_and_or_b32 v52, v29, v249, v28                           // 000000008FA4: D2010034 0473F31D
	v_accvgpr_read_b32 v30, a170                               // 000000008FAC: D3D8401E 180001AA
	v_accvgpr_read_b32 v31, a171                               // 000000008FB4: D3D8401F 180001AB
	v_mul_f32_e32 v30, s48, v30                                // 000000008FBC: 0A3C3C30
	v_mul_f32_e32 v31, s48, v31                                // 000000008FC0: 0A3E3E30
	v_cmp_u_f32_e64 s[74:75], v30, v30                         // 000000008FC4: D048004A 00023D1E
	v_bfe_u32 v248, v30, 16, 1                                 // 000000008FCC: D1C800F8 0205211E
	v_add3_u32 v248, v30, v248, v251                           // 000000008FD4: D1FF00F8 07EFF11E
	v_cndmask_b32_e64 v28, v248, v250, s[74:75]                // 000000008FDC: D100001C 012BF5F8
	v_lshrrev_b32_e32 v28, 16, v28                             // 000000008FE4: 20383890
	v_cmp_u_f32_e64 s[74:75], v31, v31                         // 000000008FE8: D048004A 00023F1F
	v_bfe_u32 v248, v31, 16, 1                                 // 000000008FF0: D1C800F8 0205211F
	v_add3_u32 v248, v31, v248, v251                           // 000000008FF8: D1FF00F8 07EFF11F
	v_cndmask_b32_e64 v29, v248, v250, s[74:75]                // 000000009000: D100001D 012BF5F8
	v_and_or_b32 v53, v29, v249, v28                           // 000000009008: D2010035 0473F31D
	v_accvgpr_read_b32 v30, a172                               // 000000009010: D3D8401E 180001AC
	v_accvgpr_read_b32 v31, a173                               // 000000009018: D3D8401F 180001AD
	v_mul_f32_e32 v30, s48, v30                                // 000000009020: 0A3C3C30
	v_mul_f32_e32 v31, s48, v31                                // 000000009024: 0A3E3E30
	v_cmp_u_f32_e64 s[74:75], v30, v30                         // 000000009028: D048004A 00023D1E
	v_bfe_u32 v248, v30, 16, 1                                 // 000000009030: D1C800F8 0205211E
	v_add3_u32 v248, v30, v248, v251                           // 000000009038: D1FF00F8 07EFF11E
	v_cndmask_b32_e64 v28, v248, v250, s[74:75]                // 000000009040: D100001C 012BF5F8
	v_lshrrev_b32_e32 v28, 16, v28                             // 000000009048: 20383890
	v_cmp_u_f32_e64 s[74:75], v31, v31                         // 00000000904C: D048004A 00023F1F
	v_bfe_u32 v248, v31, 16, 1                                 // 000000009054: D1C800F8 0205211F
	v_add3_u32 v248, v31, v248, v251                           // 00000000905C: D1FF00F8 07EFF11F
	v_cndmask_b32_e64 v29, v248, v250, s[74:75]                // 000000009064: D100001D 012BF5F8
	v_and_or_b32 v54, v29, v249, v28                           // 00000000906C: D2010036 0473F31D
	v_accvgpr_read_b32 v30, a174                               // 000000009074: D3D8401E 180001AE
	v_accvgpr_read_b32 v31, a175                               // 00000000907C: D3D8401F 180001AF
	v_mul_f32_e32 v30, s48, v30                                // 000000009084: 0A3C3C30
	v_mul_f32_e32 v31, s48, v31                                // 000000009088: 0A3E3E30
	v_cmp_u_f32_e64 s[74:75], v30, v30                         // 00000000908C: D048004A 00023D1E
	v_bfe_u32 v248, v30, 16, 1                                 // 000000009094: D1C800F8 0205211E
	v_add3_u32 v248, v30, v248, v251                           // 00000000909C: D1FF00F8 07EFF11E
	v_cndmask_b32_e64 v28, v248, v250, s[74:75]                // 0000000090A4: D100001C 012BF5F8
	v_lshrrev_b32_e32 v28, 16, v28                             // 0000000090AC: 20383890
	v_cmp_u_f32_e64 s[74:75], v31, v31                         // 0000000090B0: D048004A 00023F1F
	v_bfe_u32 v248, v31, 16, 1                                 // 0000000090B8: D1C800F8 0205211F
	v_add3_u32 v248, v31, v248, v251                           // 0000000090C0: D1FF00F8 07EFF11F
	v_cndmask_b32_e64 v29, v248, v250, s[74:75]                // 0000000090C8: D100001D 012BF5F8
	v_and_or_b32 v55, v29, v249, v28                           // 0000000090D0: D2010037 0473F31D
	v_accvgpr_read_b32 v30, a176                               // 0000000090D8: D3D8401E 180001B0
	v_accvgpr_read_b32 v31, a177                               // 0000000090E0: D3D8401F 180001B1
	v_mul_f32_e32 v30, s48, v30                                // 0000000090E8: 0A3C3C30
	v_mul_f32_e32 v31, s48, v31                                // 0000000090EC: 0A3E3E30
	v_cmp_u_f32_e64 s[74:75], v30, v30                         // 0000000090F0: D048004A 00023D1E
	v_bfe_u32 v248, v30, 16, 1                                 // 0000000090F8: D1C800F8 0205211E
	v_add3_u32 v248, v30, v248, v251                           // 000000009100: D1FF00F8 07EFF11E
	v_cndmask_b32_e64 v28, v248, v250, s[74:75]                // 000000009108: D100001C 012BF5F8
	v_lshrrev_b32_e32 v28, 16, v28                             // 000000009110: 20383890
	v_cmp_u_f32_e64 s[74:75], v31, v31                         // 000000009114: D048004A 00023F1F
	v_bfe_u32 v248, v31, 16, 1                                 // 00000000911C: D1C800F8 0205211F
	v_add3_u32 v248, v31, v248, v251                           // 000000009124: D1FF00F8 07EFF11F
	v_cndmask_b32_e64 v29, v248, v250, s[74:75]                // 00000000912C: D100001D 012BF5F8
	v_and_or_b32 v56, v29, v249, v28                           // 000000009134: D2010038 0473F31D
	v_accvgpr_read_b32 v30, a178                               // 00000000913C: D3D8401E 180001B2
	v_accvgpr_read_b32 v31, a179                               // 000000009144: D3D8401F 180001B3
	v_mul_f32_e32 v30, s48, v30                                // 00000000914C: 0A3C3C30
	v_mul_f32_e32 v31, s48, v31                                // 000000009150: 0A3E3E30
	v_cmp_u_f32_e64 s[74:75], v30, v30                         // 000000009154: D048004A 00023D1E
	v_bfe_u32 v248, v30, 16, 1                                 // 00000000915C: D1C800F8 0205211E
	v_add3_u32 v248, v30, v248, v251                           // 000000009164: D1FF00F8 07EFF11E
	v_cndmask_b32_e64 v28, v248, v250, s[74:75]                // 00000000916C: D100001C 012BF5F8
	v_lshrrev_b32_e32 v28, 16, v28                             // 000000009174: 20383890
	v_cmp_u_f32_e64 s[74:75], v31, v31                         // 000000009178: D048004A 00023F1F
	v_bfe_u32 v248, v31, 16, 1                                 // 000000009180: D1C800F8 0205211F
	v_add3_u32 v248, v31, v248, v251                           // 000000009188: D1FF00F8 07EFF11F
	v_cndmask_b32_e64 v29, v248, v250, s[74:75]                // 000000009190: D100001D 012BF5F8
	v_and_or_b32 v57, v29, v249, v28                           // 000000009198: D2010039 0473F31D
	v_accvgpr_read_b32 v30, a180                               // 0000000091A0: D3D8401E 180001B4
	v_accvgpr_read_b32 v31, a181                               // 0000000091A8: D3D8401F 180001B5
	v_mul_f32_e32 v30, s48, v30                                // 0000000091B0: 0A3C3C30
	v_mul_f32_e32 v31, s48, v31                                // 0000000091B4: 0A3E3E30
	v_cmp_u_f32_e64 s[74:75], v30, v30                         // 0000000091B8: D048004A 00023D1E
	v_bfe_u32 v248, v30, 16, 1                                 // 0000000091C0: D1C800F8 0205211E
	v_add3_u32 v248, v30, v248, v251                           // 0000000091C8: D1FF00F8 07EFF11E
	v_cndmask_b32_e64 v28, v248, v250, s[74:75]                // 0000000091D0: D100001C 012BF5F8
	v_lshrrev_b32_e32 v28, 16, v28                             // 0000000091D8: 20383890
	v_cmp_u_f32_e64 s[74:75], v31, v31                         // 0000000091DC: D048004A 00023F1F
	v_bfe_u32 v248, v31, 16, 1                                 // 0000000091E4: D1C800F8 0205211F
	v_add3_u32 v248, v31, v248, v251                           // 0000000091EC: D1FF00F8 07EFF11F
	v_cndmask_b32_e64 v29, v248, v250, s[74:75]                // 0000000091F4: D100001D 012BF5F8
	v_and_or_b32 v58, v29, v249, v28                           // 0000000091FC: D201003A 0473F31D
	v_accvgpr_read_b32 v30, a182                               // 000000009204: D3D8401E 180001B6
	v_accvgpr_read_b32 v31, a183                               // 00000000920C: D3D8401F 180001B7
	v_mul_f32_e32 v30, s48, v30                                // 000000009214: 0A3C3C30
	v_mul_f32_e32 v31, s48, v31                                // 000000009218: 0A3E3E30
	v_cmp_u_f32_e64 s[74:75], v30, v30                         // 00000000921C: D048004A 00023D1E
	v_bfe_u32 v248, v30, 16, 1                                 // 000000009224: D1C800F8 0205211E
	v_add3_u32 v248, v30, v248, v251                           // 00000000922C: D1FF00F8 07EFF11E
	v_cndmask_b32_e64 v28, v248, v250, s[74:75]                // 000000009234: D100001C 012BF5F8
	v_lshrrev_b32_e32 v28, 16, v28                             // 00000000923C: 20383890
	v_cmp_u_f32_e64 s[74:75], v31, v31                         // 000000009240: D048004A 00023F1F
	v_bfe_u32 v248, v31, 16, 1                                 // 000000009248: D1C800F8 0205211F
	v_add3_u32 v248, v31, v248, v251                           // 000000009250: D1FF00F8 07EFF11F
	v_cndmask_b32_e64 v29, v248, v250, s[74:75]                // 000000009258: D100001D 012BF5F8
	v_and_or_b32 v59, v29, v249, v28                           // 000000009260: D201003B 0473F31D
	v_accvgpr_read_b32 v30, a184                               // 000000009268: D3D8401E 180001B8
	v_accvgpr_read_b32 v31, a185                               // 000000009270: D3D8401F 180001B9
	v_mul_f32_e32 v30, s48, v30                                // 000000009278: 0A3C3C30
	v_mul_f32_e32 v31, s48, v31                                // 00000000927C: 0A3E3E30
	v_cmp_u_f32_e64 s[74:75], v30, v30                         // 000000009280: D048004A 00023D1E
	v_bfe_u32 v248, v30, 16, 1                                 // 000000009288: D1C800F8 0205211E
	v_add3_u32 v248, v30, v248, v251                           // 000000009290: D1FF00F8 07EFF11E
	v_cndmask_b32_e64 v28, v248, v250, s[74:75]                // 000000009298: D100001C 012BF5F8
	v_lshrrev_b32_e32 v28, 16, v28                             // 0000000092A0: 20383890
	v_cmp_u_f32_e64 s[74:75], v31, v31                         // 0000000092A4: D048004A 00023F1F
	v_bfe_u32 v248, v31, 16, 1                                 // 0000000092AC: D1C800F8 0205211F
	v_add3_u32 v248, v31, v248, v251                           // 0000000092B4: D1FF00F8 07EFF11F
	v_cndmask_b32_e64 v29, v248, v250, s[74:75]                // 0000000092BC: D100001D 012BF5F8
	v_and_or_b32 v60, v29, v249, v28                           // 0000000092C4: D201003C 0473F31D
	v_accvgpr_read_b32 v30, a186                               // 0000000092CC: D3D8401E 180001BA
	v_accvgpr_read_b32 v31, a187                               // 0000000092D4: D3D8401F 180001BB
	v_mul_f32_e32 v30, s48, v30                                // 0000000092DC: 0A3C3C30
	v_mul_f32_e32 v31, s48, v31                                // 0000000092E0: 0A3E3E30
	v_cmp_u_f32_e64 s[74:75], v30, v30                         // 0000000092E4: D048004A 00023D1E
	v_bfe_u32 v248, v30, 16, 1                                 // 0000000092EC: D1C800F8 0205211E
	v_add3_u32 v248, v30, v248, v251                           // 0000000092F4: D1FF00F8 07EFF11E
	v_cndmask_b32_e64 v28, v248, v250, s[74:75]                // 0000000092FC: D100001C 012BF5F8
	v_lshrrev_b32_e32 v28, 16, v28                             // 000000009304: 20383890
	v_cmp_u_f32_e64 s[74:75], v31, v31                         // 000000009308: D048004A 00023F1F
	v_bfe_u32 v248, v31, 16, 1                                 // 000000009310: D1C800F8 0205211F
	v_add3_u32 v248, v31, v248, v251                           // 000000009318: D1FF00F8 07EFF11F
	v_cndmask_b32_e64 v29, v248, v250, s[74:75]                // 000000009320: D100001D 012BF5F8
	v_and_or_b32 v61, v29, v249, v28                           // 000000009328: D201003D 0473F31D
	v_accvgpr_read_b32 v30, a188                               // 000000009330: D3D8401E 180001BC
	v_accvgpr_read_b32 v31, a189                               // 000000009338: D3D8401F 180001BD
	v_mul_f32_e32 v30, s48, v30                                // 000000009340: 0A3C3C30
	v_mul_f32_e32 v31, s48, v31                                // 000000009344: 0A3E3E30
	v_cmp_u_f32_e64 s[74:75], v30, v30                         // 000000009348: D048004A 00023D1E
	v_bfe_u32 v248, v30, 16, 1                                 // 000000009350: D1C800F8 0205211E
	v_add3_u32 v248, v30, v248, v251                           // 000000009358: D1FF00F8 07EFF11E
	v_cndmask_b32_e64 v28, v248, v250, s[74:75]                // 000000009360: D100001C 012BF5F8
	v_lshrrev_b32_e32 v28, 16, v28                             // 000000009368: 20383890
	v_cmp_u_f32_e64 s[74:75], v31, v31                         // 00000000936C: D048004A 00023F1F
	v_bfe_u32 v248, v31, 16, 1                                 // 000000009374: D1C800F8 0205211F
	v_add3_u32 v248, v31, v248, v251                           // 00000000937C: D1FF00F8 07EFF11F
	v_cndmask_b32_e64 v29, v248, v250, s[74:75]                // 000000009384: D100001D 012BF5F8
	v_and_or_b32 v62, v29, v249, v28                           // 00000000938C: D201003E 0473F31D
	v_accvgpr_read_b32 v30, a190                               // 000000009394: D3D8401E 180001BE
	v_accvgpr_read_b32 v31, a191                               // 00000000939C: D3D8401F 180001BF
	v_mul_f32_e32 v30, s48, v30                                // 0000000093A4: 0A3C3C30
	v_mul_f32_e32 v31, s48, v31                                // 0000000093A8: 0A3E3E30
	v_cmp_u_f32_e64 s[74:75], v30, v30                         // 0000000093AC: D048004A 00023D1E
	v_bfe_u32 v248, v30, 16, 1                                 // 0000000093B4: D1C800F8 0205211E
	v_add3_u32 v248, v30, v248, v251                           // 0000000093BC: D1FF00F8 07EFF11E
	v_cndmask_b32_e64 v28, v248, v250, s[74:75]                // 0000000093C4: D100001C 012BF5F8
	v_lshrrev_b32_e32 v28, 16, v28                             // 0000000093CC: 20383890
	v_cmp_u_f32_e64 s[74:75], v31, v31                         // 0000000093D0: D048004A 00023F1F
	v_bfe_u32 v248, v31, 16, 1                                 // 0000000093D8: D1C800F8 0205211F
	v_add3_u32 v248, v31, v248, v251                           // 0000000093E0: D1FF00F8 07EFF11F
	v_cndmask_b32_e64 v29, v248, v250, s[74:75]                // 0000000093E8: D100001D 012BF5F8
	v_and_or_b32 v63, v29, v249, v28                           // 0000000093F0: D201003F 0473F31D
	ds_write_b64 v27, v[48:49]                                 // 0000000093F8: D89A0000 0000301B
	ds_write_b64 v27, v[50:51] offset:528                      // 000000009400: D89A0210 0000321B
	ds_write_b64 v27, v[52:53] offset:1056                     // 000000009408: D89A0420 0000341B
	ds_write_b64 v27, v[54:55] offset:1584                     // 000000009410: D89A0630 0000361B
	ds_write_b64 v27, v[56:57] offset:2112                     // 000000009418: D89A0840 0000381B
	ds_write_b64 v27, v[58:59] offset:2640                     // 000000009420: D89A0A50 00003A1B
	ds_write_b64 v27, v[60:61] offset:3168                     // 000000009428: D89A0C60 00003C1B
	ds_write_b64 v27, v[62:63] offset:3696                     // 000000009430: D89A0E70 00003E1B
	s_waitcnt lgkmcnt(0)                                       // 000000009438: BF8CC07F
	s_barrier                                                  // 00000000943C: BF8A0000
	ds_read_b64 v[48:49], v26                                  // 000000009440: D8EC0000 3000001A
	ds_read_b64 v[50:51], v26 offset:128                       // 000000009448: D8EC0080 3200001A
	ds_read_b64 v[52:53], v26 offset:32                        // 000000009450: D8EC0020 3400001A
	ds_read_b64 v[54:55], v26 offset:160                       // 000000009458: D8EC00A0 3600001A
	ds_read_b64 v[56:57], v26 offset:64                        // 000000009460: D8EC0040 3800001A
	ds_read_b64 v[58:59], v26 offset:192                       // 000000009468: D8EC00C0 3A00001A
	ds_read_b64 v[60:61], v26 offset:96                        // 000000009470: D8EC0060 3C00001A
	ds_read_b64 v[62:63], v26 offset:224                       // 000000009478: D8EC00E0 3E00001A
	s_waitcnt lgkmcnt(0)                                       // 000000009480: BF8CC07F
	buffer_store_dwordx4 v[48:51], v5, s[36:39], 0 idxen       // 000000009484: E07C2000 80093005
	v_add_u32_e32 v5, s46, v5                                  // 00000000948C: 680A0A2E
	buffer_store_dwordx4 v[52:55], v5, s[36:39], 0 idxen       // 000000009490: E07C2000 80093405
	v_add_u32_e32 v5, s46, v5                                  // 000000009498: 680A0A2E
	buffer_store_dwordx4 v[56:59], v5, s[36:39], 0 idxen       // 00000000949C: E07C2000 80093805
	v_add_u32_e32 v5, s46, v5                                  // 0000000094A4: 680A0A2E
	buffer_store_dwordx4 v[60:63], v5, s[36:39], 0 idxen       // 0000000094A8: E07C2000 80093C05
	v_add_u32_e32 v5, s46, v5                                  // 0000000094B0: 680A0A2E
	s_mul_i32 s60, 12, s46                                     // 0000000094B4: 923C2E8C
	v_add_u32_e32 v5, s60, v5                                  // 0000000094B8: 680A0A3C
	s_barrier                                                  // 0000000094BC: BF8A0000
	s_cmp_ge_i32 1, s73                                        // 0000000094C0: BF034981
	s_cbranch_scc1 label_193A                                  // 0000000094C4: BF850388
	v_accvgpr_read_b32 v30, a192                               // 0000000094C8: D3D8401E 180001C0
	v_accvgpr_read_b32 v31, a193                               // 0000000094D0: D3D8401F 180001C1
	v_mul_f32_e32 v30, s48, v30                                // 0000000094D8: 0A3C3C30
	v_mul_f32_e32 v31, s48, v31                                // 0000000094DC: 0A3E3E30
	v_cmp_u_f32_e64 s[74:75], v30, v30                         // 0000000094E0: D048004A 00023D1E
	v_bfe_u32 v248, v30, 16, 1                                 // 0000000094E8: D1C800F8 0205211E
	v_add3_u32 v248, v30, v248, v251                           // 0000000094F0: D1FF00F8 07EFF11E
	v_cndmask_b32_e64 v28, v248, v250, s[74:75]                // 0000000094F8: D100001C 012BF5F8
	v_lshrrev_b32_e32 v28, 16, v28                             // 000000009500: 20383890
	v_cmp_u_f32_e64 s[74:75], v31, v31                         // 000000009504: D048004A 00023F1F
	v_bfe_u32 v248, v31, 16, 1                                 // 00000000950C: D1C800F8 0205211F
	v_add3_u32 v248, v31, v248, v251                           // 000000009514: D1FF00F8 07EFF11F
	v_cndmask_b32_e64 v29, v248, v250, s[74:75]                // 00000000951C: D100001D 012BF5F8
	v_and_or_b32 v64, v29, v249, v28                           // 000000009524: D2010040 0473F31D
	v_accvgpr_read_b32 v30, a194                               // 00000000952C: D3D8401E 180001C2
	v_accvgpr_read_b32 v31, a195                               // 000000009534: D3D8401F 180001C3
	v_mul_f32_e32 v30, s48, v30                                // 00000000953C: 0A3C3C30
	v_mul_f32_e32 v31, s48, v31                                // 000000009540: 0A3E3E30
	v_cmp_u_f32_e64 s[74:75], v30, v30                         // 000000009544: D048004A 00023D1E
	v_bfe_u32 v248, v30, 16, 1                                 // 00000000954C: D1C800F8 0205211E
	v_add3_u32 v248, v30, v248, v251                           // 000000009554: D1FF00F8 07EFF11E
	v_cndmask_b32_e64 v28, v248, v250, s[74:75]                // 00000000955C: D100001C 012BF5F8
	v_lshrrev_b32_e32 v28, 16, v28                             // 000000009564: 20383890
	v_cmp_u_f32_e64 s[74:75], v31, v31                         // 000000009568: D048004A 00023F1F
	v_bfe_u32 v248, v31, 16, 1                                 // 000000009570: D1C800F8 0205211F
	v_add3_u32 v248, v31, v248, v251                           // 000000009578: D1FF00F8 07EFF11F
	v_cndmask_b32_e64 v29, v248, v250, s[74:75]                // 000000009580: D100001D 012BF5F8
	v_and_or_b32 v65, v29, v249, v28                           // 000000009588: D2010041 0473F31D
	v_accvgpr_read_b32 v30, a196                               // 000000009590: D3D8401E 180001C4
	v_accvgpr_read_b32 v31, a197                               // 000000009598: D3D8401F 180001C5
	v_mul_f32_e32 v30, s48, v30                                // 0000000095A0: 0A3C3C30
	v_mul_f32_e32 v31, s48, v31                                // 0000000095A4: 0A3E3E30
	v_cmp_u_f32_e64 s[74:75], v30, v30                         // 0000000095A8: D048004A 00023D1E
	v_bfe_u32 v248, v30, 16, 1                                 // 0000000095B0: D1C800F8 0205211E
	v_add3_u32 v248, v30, v248, v251                           // 0000000095B8: D1FF00F8 07EFF11E
	v_cndmask_b32_e64 v28, v248, v250, s[74:75]                // 0000000095C0: D100001C 012BF5F8
	v_lshrrev_b32_e32 v28, 16, v28                             // 0000000095C8: 20383890
	v_cmp_u_f32_e64 s[74:75], v31, v31                         // 0000000095CC: D048004A 00023F1F
	v_bfe_u32 v248, v31, 16, 1                                 // 0000000095D4: D1C800F8 0205211F
	v_add3_u32 v248, v31, v248, v251                           // 0000000095DC: D1FF00F8 07EFF11F
	v_cndmask_b32_e64 v29, v248, v250, s[74:75]                // 0000000095E4: D100001D 012BF5F8
	v_and_or_b32 v66, v29, v249, v28                           // 0000000095EC: D2010042 0473F31D
	v_accvgpr_read_b32 v30, a198                               // 0000000095F4: D3D8401E 180001C6
	v_accvgpr_read_b32 v31, a199                               // 0000000095FC: D3D8401F 180001C7
	v_mul_f32_e32 v30, s48, v30                                // 000000009604: 0A3C3C30
	v_mul_f32_e32 v31, s48, v31                                // 000000009608: 0A3E3E30
	v_cmp_u_f32_e64 s[74:75], v30, v30                         // 00000000960C: D048004A 00023D1E
	v_bfe_u32 v248, v30, 16, 1                                 // 000000009614: D1C800F8 0205211E
	v_add3_u32 v248, v30, v248, v251                           // 00000000961C: D1FF00F8 07EFF11E
	v_cndmask_b32_e64 v28, v248, v250, s[74:75]                // 000000009624: D100001C 012BF5F8
	v_lshrrev_b32_e32 v28, 16, v28                             // 00000000962C: 20383890
	v_cmp_u_f32_e64 s[74:75], v31, v31                         // 000000009630: D048004A 00023F1F
	v_bfe_u32 v248, v31, 16, 1                                 // 000000009638: D1C800F8 0205211F
	v_add3_u32 v248, v31, v248, v251                           // 000000009640: D1FF00F8 07EFF11F
	v_cndmask_b32_e64 v29, v248, v250, s[74:75]                // 000000009648: D100001D 012BF5F8
	v_and_or_b32 v67, v29, v249, v28                           // 000000009650: D2010043 0473F31D
	v_accvgpr_read_b32 v30, a200                               // 000000009658: D3D8401E 180001C8
	v_accvgpr_read_b32 v31, a201                               // 000000009660: D3D8401F 180001C9
	v_mul_f32_e32 v30, s48, v30                                // 000000009668: 0A3C3C30
	v_mul_f32_e32 v31, s48, v31                                // 00000000966C: 0A3E3E30
	v_cmp_u_f32_e64 s[74:75], v30, v30                         // 000000009670: D048004A 00023D1E
	v_bfe_u32 v248, v30, 16, 1                                 // 000000009678: D1C800F8 0205211E
	v_add3_u32 v248, v30, v248, v251                           // 000000009680: D1FF00F8 07EFF11E
	v_cndmask_b32_e64 v28, v248, v250, s[74:75]                // 000000009688: D100001C 012BF5F8
	v_lshrrev_b32_e32 v28, 16, v28                             // 000000009690: 20383890
	v_cmp_u_f32_e64 s[74:75], v31, v31                         // 000000009694: D048004A 00023F1F
	v_bfe_u32 v248, v31, 16, 1                                 // 00000000969C: D1C800F8 0205211F
	v_add3_u32 v248, v31, v248, v251                           // 0000000096A4: D1FF00F8 07EFF11F
	v_cndmask_b32_e64 v29, v248, v250, s[74:75]                // 0000000096AC: D100001D 012BF5F8
	v_and_or_b32 v68, v29, v249, v28                           // 0000000096B4: D2010044 0473F31D
	v_accvgpr_read_b32 v30, a202                               // 0000000096BC: D3D8401E 180001CA
	v_accvgpr_read_b32 v31, a203                               // 0000000096C4: D3D8401F 180001CB
	v_mul_f32_e32 v30, s48, v30                                // 0000000096CC: 0A3C3C30
	v_mul_f32_e32 v31, s48, v31                                // 0000000096D0: 0A3E3E30
	v_cmp_u_f32_e64 s[74:75], v30, v30                         // 0000000096D4: D048004A 00023D1E
	v_bfe_u32 v248, v30, 16, 1                                 // 0000000096DC: D1C800F8 0205211E
	v_add3_u32 v248, v30, v248, v251                           // 0000000096E4: D1FF00F8 07EFF11E
	v_cndmask_b32_e64 v28, v248, v250, s[74:75]                // 0000000096EC: D100001C 012BF5F8
	v_lshrrev_b32_e32 v28, 16, v28                             // 0000000096F4: 20383890
	v_cmp_u_f32_e64 s[74:75], v31, v31                         // 0000000096F8: D048004A 00023F1F
	v_bfe_u32 v248, v31, 16, 1                                 // 000000009700: D1C800F8 0205211F
	v_add3_u32 v248, v31, v248, v251                           // 000000009708: D1FF00F8 07EFF11F
	v_cndmask_b32_e64 v29, v248, v250, s[74:75]                // 000000009710: D100001D 012BF5F8
	v_and_or_b32 v69, v29, v249, v28                           // 000000009718: D2010045 0473F31D
	v_accvgpr_read_b32 v30, a204                               // 000000009720: D3D8401E 180001CC
	v_accvgpr_read_b32 v31, a205                               // 000000009728: D3D8401F 180001CD
	v_mul_f32_e32 v30, s48, v30                                // 000000009730: 0A3C3C30
	v_mul_f32_e32 v31, s48, v31                                // 000000009734: 0A3E3E30
	v_cmp_u_f32_e64 s[74:75], v30, v30                         // 000000009738: D048004A 00023D1E
	v_bfe_u32 v248, v30, 16, 1                                 // 000000009740: D1C800F8 0205211E
	v_add3_u32 v248, v30, v248, v251                           // 000000009748: D1FF00F8 07EFF11E
	v_cndmask_b32_e64 v28, v248, v250, s[74:75]                // 000000009750: D100001C 012BF5F8
	v_lshrrev_b32_e32 v28, 16, v28                             // 000000009758: 20383890
	v_cmp_u_f32_e64 s[74:75], v31, v31                         // 00000000975C: D048004A 00023F1F
	v_bfe_u32 v248, v31, 16, 1                                 // 000000009764: D1C800F8 0205211F
	v_add3_u32 v248, v31, v248, v251                           // 00000000976C: D1FF00F8 07EFF11F
	v_cndmask_b32_e64 v29, v248, v250, s[74:75]                // 000000009774: D100001D 012BF5F8
	v_and_or_b32 v70, v29, v249, v28                           // 00000000977C: D2010046 0473F31D
	v_accvgpr_read_b32 v30, a206                               // 000000009784: D3D8401E 180001CE
	v_accvgpr_read_b32 v31, a207                               // 00000000978C: D3D8401F 180001CF
	v_mul_f32_e32 v30, s48, v30                                // 000000009794: 0A3C3C30
	v_mul_f32_e32 v31, s48, v31                                // 000000009798: 0A3E3E30
	v_cmp_u_f32_e64 s[74:75], v30, v30                         // 00000000979C: D048004A 00023D1E
	v_bfe_u32 v248, v30, 16, 1                                 // 0000000097A4: D1C800F8 0205211E
	v_add3_u32 v248, v30, v248, v251                           // 0000000097AC: D1FF00F8 07EFF11E
	v_cndmask_b32_e64 v28, v248, v250, s[74:75]                // 0000000097B4: D100001C 012BF5F8
	v_lshrrev_b32_e32 v28, 16, v28                             // 0000000097BC: 20383890
	v_cmp_u_f32_e64 s[74:75], v31, v31                         // 0000000097C0: D048004A 00023F1F
	v_bfe_u32 v248, v31, 16, 1                                 // 0000000097C8: D1C800F8 0205211F
	v_add3_u32 v248, v31, v248, v251                           // 0000000097D0: D1FF00F8 07EFF11F
	v_cndmask_b32_e64 v29, v248, v250, s[74:75]                // 0000000097D8: D100001D 012BF5F8
	v_and_or_b32 v71, v29, v249, v28                           // 0000000097E0: D2010047 0473F31D
	v_accvgpr_read_b32 v30, a208                               // 0000000097E8: D3D8401E 180001D0
	v_accvgpr_read_b32 v31, a209                               // 0000000097F0: D3D8401F 180001D1
	v_mul_f32_e32 v30, s48, v30                                // 0000000097F8: 0A3C3C30
	v_mul_f32_e32 v31, s48, v31                                // 0000000097FC: 0A3E3E30
	v_cmp_u_f32_e64 s[74:75], v30, v30                         // 000000009800: D048004A 00023D1E
	v_bfe_u32 v248, v30, 16, 1                                 // 000000009808: D1C800F8 0205211E
	v_add3_u32 v248, v30, v248, v251                           // 000000009810: D1FF00F8 07EFF11E
	v_cndmask_b32_e64 v28, v248, v250, s[74:75]                // 000000009818: D100001C 012BF5F8
	v_lshrrev_b32_e32 v28, 16, v28                             // 000000009820: 20383890
	v_cmp_u_f32_e64 s[74:75], v31, v31                         // 000000009824: D048004A 00023F1F
	v_bfe_u32 v248, v31, 16, 1                                 // 00000000982C: D1C800F8 0205211F
	v_add3_u32 v248, v31, v248, v251                           // 000000009834: D1FF00F8 07EFF11F
	v_cndmask_b32_e64 v29, v248, v250, s[74:75]                // 00000000983C: D100001D 012BF5F8
	v_and_or_b32 v72, v29, v249, v28                           // 000000009844: D2010048 0473F31D
	v_accvgpr_read_b32 v30, a210                               // 00000000984C: D3D8401E 180001D2
	v_accvgpr_read_b32 v31, a211                               // 000000009854: D3D8401F 180001D3
	v_mul_f32_e32 v30, s48, v30                                // 00000000985C: 0A3C3C30
	v_mul_f32_e32 v31, s48, v31                                // 000000009860: 0A3E3E30
	v_cmp_u_f32_e64 s[74:75], v30, v30                         // 000000009864: D048004A 00023D1E
	v_bfe_u32 v248, v30, 16, 1                                 // 00000000986C: D1C800F8 0205211E
	v_add3_u32 v248, v30, v248, v251                           // 000000009874: D1FF00F8 07EFF11E
	v_cndmask_b32_e64 v28, v248, v250, s[74:75]                // 00000000987C: D100001C 012BF5F8
	v_lshrrev_b32_e32 v28, 16, v28                             // 000000009884: 20383890
	v_cmp_u_f32_e64 s[74:75], v31, v31                         // 000000009888: D048004A 00023F1F
	v_bfe_u32 v248, v31, 16, 1                                 // 000000009890: D1C800F8 0205211F
	v_add3_u32 v248, v31, v248, v251                           // 000000009898: D1FF00F8 07EFF11F
	v_cndmask_b32_e64 v29, v248, v250, s[74:75]                // 0000000098A0: D100001D 012BF5F8
	v_and_or_b32 v73, v29, v249, v28                           // 0000000098A8: D2010049 0473F31D
	v_accvgpr_read_b32 v30, a212                               // 0000000098B0: D3D8401E 180001D4
	v_accvgpr_read_b32 v31, a213                               // 0000000098B8: D3D8401F 180001D5
	v_mul_f32_e32 v30, s48, v30                                // 0000000098C0: 0A3C3C30
	v_mul_f32_e32 v31, s48, v31                                // 0000000098C4: 0A3E3E30
	v_cmp_u_f32_e64 s[74:75], v30, v30                         // 0000000098C8: D048004A 00023D1E
	v_bfe_u32 v248, v30, 16, 1                                 // 0000000098D0: D1C800F8 0205211E
	v_add3_u32 v248, v30, v248, v251                           // 0000000098D8: D1FF00F8 07EFF11E
	v_cndmask_b32_e64 v28, v248, v250, s[74:75]                // 0000000098E0: D100001C 012BF5F8
	v_lshrrev_b32_e32 v28, 16, v28                             // 0000000098E8: 20383890
	v_cmp_u_f32_e64 s[74:75], v31, v31                         // 0000000098EC: D048004A 00023F1F
	v_bfe_u32 v248, v31, 16, 1                                 // 0000000098F4: D1C800F8 0205211F
	v_add3_u32 v248, v31, v248, v251                           // 0000000098FC: D1FF00F8 07EFF11F
	v_cndmask_b32_e64 v29, v248, v250, s[74:75]                // 000000009904: D100001D 012BF5F8
	v_and_or_b32 v74, v29, v249, v28                           // 00000000990C: D201004A 0473F31D
	v_accvgpr_read_b32 v30, a214                               // 000000009914: D3D8401E 180001D6
	v_accvgpr_read_b32 v31, a215                               // 00000000991C: D3D8401F 180001D7
	v_mul_f32_e32 v30, s48, v30                                // 000000009924: 0A3C3C30
	v_mul_f32_e32 v31, s48, v31                                // 000000009928: 0A3E3E30
	v_cmp_u_f32_e64 s[74:75], v30, v30                         // 00000000992C: D048004A 00023D1E
	v_bfe_u32 v248, v30, 16, 1                                 // 000000009934: D1C800F8 0205211E
	v_add3_u32 v248, v30, v248, v251                           // 00000000993C: D1FF00F8 07EFF11E
	v_cndmask_b32_e64 v28, v248, v250, s[74:75]                // 000000009944: D100001C 012BF5F8
	v_lshrrev_b32_e32 v28, 16, v28                             // 00000000994C: 20383890
	v_cmp_u_f32_e64 s[74:75], v31, v31                         // 000000009950: D048004A 00023F1F
	v_bfe_u32 v248, v31, 16, 1                                 // 000000009958: D1C800F8 0205211F
	v_add3_u32 v248, v31, v248, v251                           // 000000009960: D1FF00F8 07EFF11F
	v_cndmask_b32_e64 v29, v248, v250, s[74:75]                // 000000009968: D100001D 012BF5F8
	v_and_or_b32 v75, v29, v249, v28                           // 000000009970: D201004B 0473F31D
	v_accvgpr_read_b32 v30, a216                               // 000000009978: D3D8401E 180001D8
	v_accvgpr_read_b32 v31, a217                               // 000000009980: D3D8401F 180001D9
	v_mul_f32_e32 v30, s48, v30                                // 000000009988: 0A3C3C30
	v_mul_f32_e32 v31, s48, v31                                // 00000000998C: 0A3E3E30
	v_cmp_u_f32_e64 s[74:75], v30, v30                         // 000000009990: D048004A 00023D1E
	v_bfe_u32 v248, v30, 16, 1                                 // 000000009998: D1C800F8 0205211E
	v_add3_u32 v248, v30, v248, v251                           // 0000000099A0: D1FF00F8 07EFF11E
	v_cndmask_b32_e64 v28, v248, v250, s[74:75]                // 0000000099A8: D100001C 012BF5F8
	v_lshrrev_b32_e32 v28, 16, v28                             // 0000000099B0: 20383890
	v_cmp_u_f32_e64 s[74:75], v31, v31                         // 0000000099B4: D048004A 00023F1F
	v_bfe_u32 v248, v31, 16, 1                                 // 0000000099BC: D1C800F8 0205211F
	v_add3_u32 v248, v31, v248, v251                           // 0000000099C4: D1FF00F8 07EFF11F
	v_cndmask_b32_e64 v29, v248, v250, s[74:75]                // 0000000099CC: D100001D 012BF5F8
	v_and_or_b32 v76, v29, v249, v28                           // 0000000099D4: D201004C 0473F31D
	v_accvgpr_read_b32 v30, a218                               // 0000000099DC: D3D8401E 180001DA
	v_accvgpr_read_b32 v31, a219                               // 0000000099E4: D3D8401F 180001DB
	v_mul_f32_e32 v30, s48, v30                                // 0000000099EC: 0A3C3C30
	v_mul_f32_e32 v31, s48, v31                                // 0000000099F0: 0A3E3E30
	v_cmp_u_f32_e64 s[74:75], v30, v30                         // 0000000099F4: D048004A 00023D1E
	v_bfe_u32 v248, v30, 16, 1                                 // 0000000099FC: D1C800F8 0205211E
	v_add3_u32 v248, v30, v248, v251                           // 000000009A04: D1FF00F8 07EFF11E
	v_cndmask_b32_e64 v28, v248, v250, s[74:75]                // 000000009A0C: D100001C 012BF5F8
	v_lshrrev_b32_e32 v28, 16, v28                             // 000000009A14: 20383890
	v_cmp_u_f32_e64 s[74:75], v31, v31                         // 000000009A18: D048004A 00023F1F
	v_bfe_u32 v248, v31, 16, 1                                 // 000000009A20: D1C800F8 0205211F
	v_add3_u32 v248, v31, v248, v251                           // 000000009A28: D1FF00F8 07EFF11F
	v_cndmask_b32_e64 v29, v248, v250, s[74:75]                // 000000009A30: D100001D 012BF5F8
	v_and_or_b32 v77, v29, v249, v28                           // 000000009A38: D201004D 0473F31D
	v_accvgpr_read_b32 v30, a220                               // 000000009A40: D3D8401E 180001DC
	v_accvgpr_read_b32 v31, a221                               // 000000009A48: D3D8401F 180001DD
	v_mul_f32_e32 v30, s48, v30                                // 000000009A50: 0A3C3C30
	v_mul_f32_e32 v31, s48, v31                                // 000000009A54: 0A3E3E30
	v_cmp_u_f32_e64 s[74:75], v30, v30                         // 000000009A58: D048004A 00023D1E
	v_bfe_u32 v248, v30, 16, 1                                 // 000000009A60: D1C800F8 0205211E
	v_add3_u32 v248, v30, v248, v251                           // 000000009A68: D1FF00F8 07EFF11E
	v_cndmask_b32_e64 v28, v248, v250, s[74:75]                // 000000009A70: D100001C 012BF5F8
	v_lshrrev_b32_e32 v28, 16, v28                             // 000000009A78: 20383890
	v_cmp_u_f32_e64 s[74:75], v31, v31                         // 000000009A7C: D048004A 00023F1F
	v_bfe_u32 v248, v31, 16, 1                                 // 000000009A84: D1C800F8 0205211F
	v_add3_u32 v248, v31, v248, v251                           // 000000009A8C: D1FF00F8 07EFF11F
	v_cndmask_b32_e64 v29, v248, v250, s[74:75]                // 000000009A94: D100001D 012BF5F8
	v_and_or_b32 v78, v29, v249, v28                           // 000000009A9C: D201004E 0473F31D
	v_accvgpr_read_b32 v30, a222                               // 000000009AA4: D3D8401E 180001DE
	v_accvgpr_read_b32 v31, a223                               // 000000009AAC: D3D8401F 180001DF
	v_mul_f32_e32 v30, s48, v30                                // 000000009AB4: 0A3C3C30
	v_mul_f32_e32 v31, s48, v31                                // 000000009AB8: 0A3E3E30
	v_cmp_u_f32_e64 s[74:75], v30, v30                         // 000000009ABC: D048004A 00023D1E
	v_bfe_u32 v248, v30, 16, 1                                 // 000000009AC4: D1C800F8 0205211E
	v_add3_u32 v248, v30, v248, v251                           // 000000009ACC: D1FF00F8 07EFF11E
	v_cndmask_b32_e64 v28, v248, v250, s[74:75]                // 000000009AD4: D100001C 012BF5F8
	v_lshrrev_b32_e32 v28, 16, v28                             // 000000009ADC: 20383890
	v_cmp_u_f32_e64 s[74:75], v31, v31                         // 000000009AE0: D048004A 00023F1F
	v_bfe_u32 v248, v31, 16, 1                                 // 000000009AE8: D1C800F8 0205211F
	v_add3_u32 v248, v31, v248, v251                           // 000000009AF0: D1FF00F8 07EFF11F
	v_cndmask_b32_e64 v29, v248, v250, s[74:75]                // 000000009AF8: D100001D 012BF5F8
	v_and_or_b32 v79, v29, v249, v28                           // 000000009B00: D201004F 0473F31D
	ds_write_b64 v27, v[64:65] offset:16896                    // 000000009B08: D89A4200 0000401B
	ds_write_b64 v27, v[66:67] offset:17424                    // 000000009B10: D89A4410 0000421B
	ds_write_b64 v27, v[68:69] offset:17952                    // 000000009B18: D89A4620 0000441B
	ds_write_b64 v27, v[70:71] offset:18480                    // 000000009B20: D89A4830 0000461B
	ds_write_b64 v27, v[72:73] offset:19008                    // 000000009B28: D89A4A40 0000481B
	ds_write_b64 v27, v[74:75] offset:19536                    // 000000009B30: D89A4C50 00004A1B
	ds_write_b64 v27, v[76:77] offset:20064                    // 000000009B38: D89A4E60 00004C1B
	ds_write_b64 v27, v[78:79] offset:20592                    // 000000009B40: D89A5070 00004E1B
	s_waitcnt lgkmcnt(0)                                       // 000000009B48: BF8CC07F
	s_barrier                                                  // 000000009B4C: BF8A0000
	ds_read_b64 v[64:65], v26 offset:16896                     // 000000009B50: D8EC4200 4000001A
	ds_read_b64 v[66:67], v26 offset:17024                     // 000000009B58: D8EC4280 4200001A
	ds_read_b64 v[68:69], v26 offset:16928                     // 000000009B60: D8EC4220 4400001A
	ds_read_b64 v[70:71], v26 offset:17056                     // 000000009B68: D8EC42A0 4600001A
	ds_read_b64 v[72:73], v26 offset:16960                     // 000000009B70: D8EC4240 4800001A
	ds_read_b64 v[74:75], v26 offset:17088                     // 000000009B78: D8EC42C0 4A00001A
	ds_read_b64 v[76:77], v26 offset:16992                     // 000000009B80: D8EC4260 4C00001A
	ds_read_b64 v[78:79], v26 offset:17120                     // 000000009B88: D8EC42E0 4E00001A
	s_waitcnt lgkmcnt(0)                                       // 000000009B90: BF8CC07F
	buffer_store_dwordx4 v[64:67], v5, s[36:39], 0 idxen       // 000000009B94: E07C2000 80094005
	v_add_u32_e32 v5, s46, v5                                  // 000000009B9C: 680A0A2E
	buffer_store_dwordx4 v[68:71], v5, s[36:39], 0 idxen       // 000000009BA0: E07C2000 80094405
	v_add_u32_e32 v5, s46, v5                                  // 000000009BA8: 680A0A2E
	buffer_store_dwordx4 v[72:75], v5, s[36:39], 0 idxen       // 000000009BAC: E07C2000 80094805
	v_add_u32_e32 v5, s46, v5                                  // 000000009BB4: 680A0A2E
	buffer_store_dwordx4 v[76:79], v5, s[36:39], 0 idxen       // 000000009BB8: E07C2000 80094C05
	v_add_u32_e32 v5, s46, v5                                  // 000000009BC0: 680A0A2E
	s_mul_i32 s60, 12, s46                                     // 000000009BC4: 923C2E8C
	v_add_u32_e32 v5, s60, v5                                  // 000000009BC8: 680A0A3C
	s_barrier                                                  // 000000009BCC: BF8A0000
	s_cmp_ge_i32 2, s73                                        // 000000009BD0: BF034982
	s_cbranch_scc1 label_193A                                  // 000000009BD4: BF8501C4
	v_accvgpr_read_b32 v30, a224                               // 000000009BD8: D3D8401E 180001E0
	v_accvgpr_read_b32 v31, a225                               // 000000009BE0: D3D8401F 180001E1
	v_mul_f32_e32 v30, s48, v30                                // 000000009BE8: 0A3C3C30
	v_mul_f32_e32 v31, s48, v31                                // 000000009BEC: 0A3E3E30
	v_cmp_u_f32_e64 s[74:75], v30, v30                         // 000000009BF0: D048004A 00023D1E
	v_bfe_u32 v248, v30, 16, 1                                 // 000000009BF8: D1C800F8 0205211E
	v_add3_u32 v248, v30, v248, v251                           // 000000009C00: D1FF00F8 07EFF11E
	v_cndmask_b32_e64 v28, v248, v250, s[74:75]                // 000000009C08: D100001C 012BF5F8
	v_lshrrev_b32_e32 v28, 16, v28                             // 000000009C10: 20383890
	v_cmp_u_f32_e64 s[74:75], v31, v31                         // 000000009C14: D048004A 00023F1F
	v_bfe_u32 v248, v31, 16, 1                                 // 000000009C1C: D1C800F8 0205211F
	v_add3_u32 v248, v31, v248, v251                           // 000000009C24: D1FF00F8 07EFF11F
	v_cndmask_b32_e64 v29, v248, v250, s[74:75]                // 000000009C2C: D100001D 012BF5F8
	v_and_or_b32 v80, v29, v249, v28                           // 000000009C34: D2010050 0473F31D
	v_accvgpr_read_b32 v30, a226                               // 000000009C3C: D3D8401E 180001E2
	v_accvgpr_read_b32 v31, a227                               // 000000009C44: D3D8401F 180001E3
	v_mul_f32_e32 v30, s48, v30                                // 000000009C4C: 0A3C3C30
	v_mul_f32_e32 v31, s48, v31                                // 000000009C50: 0A3E3E30
	v_cmp_u_f32_e64 s[74:75], v30, v30                         // 000000009C54: D048004A 00023D1E
	v_bfe_u32 v248, v30, 16, 1                                 // 000000009C5C: D1C800F8 0205211E
	v_add3_u32 v248, v30, v248, v251                           // 000000009C64: D1FF00F8 07EFF11E
	v_cndmask_b32_e64 v28, v248, v250, s[74:75]                // 000000009C6C: D100001C 012BF5F8
	v_lshrrev_b32_e32 v28, 16, v28                             // 000000009C74: 20383890
	v_cmp_u_f32_e64 s[74:75], v31, v31                         // 000000009C78: D048004A 00023F1F
	v_bfe_u32 v248, v31, 16, 1                                 // 000000009C80: D1C800F8 0205211F
	v_add3_u32 v248, v31, v248, v251                           // 000000009C88: D1FF00F8 07EFF11F
	v_cndmask_b32_e64 v29, v248, v250, s[74:75]                // 000000009C90: D100001D 012BF5F8
	v_and_or_b32 v81, v29, v249, v28                           // 000000009C98: D2010051 0473F31D
	v_accvgpr_read_b32 v30, a228                               // 000000009CA0: D3D8401E 180001E4
	v_accvgpr_read_b32 v31, a229                               // 000000009CA8: D3D8401F 180001E5
	v_mul_f32_e32 v30, s48, v30                                // 000000009CB0: 0A3C3C30
	v_mul_f32_e32 v31, s48, v31                                // 000000009CB4: 0A3E3E30
	v_cmp_u_f32_e64 s[74:75], v30, v30                         // 000000009CB8: D048004A 00023D1E
	v_bfe_u32 v248, v30, 16, 1                                 // 000000009CC0: D1C800F8 0205211E
	v_add3_u32 v248, v30, v248, v251                           // 000000009CC8: D1FF00F8 07EFF11E
	v_cndmask_b32_e64 v28, v248, v250, s[74:75]                // 000000009CD0: D100001C 012BF5F8
	v_lshrrev_b32_e32 v28, 16, v28                             // 000000009CD8: 20383890
	v_cmp_u_f32_e64 s[74:75], v31, v31                         // 000000009CDC: D048004A 00023F1F
	v_bfe_u32 v248, v31, 16, 1                                 // 000000009CE4: D1C800F8 0205211F
	v_add3_u32 v248, v31, v248, v251                           // 000000009CEC: D1FF00F8 07EFF11F
	v_cndmask_b32_e64 v29, v248, v250, s[74:75]                // 000000009CF4: D100001D 012BF5F8
	v_and_or_b32 v82, v29, v249, v28                           // 000000009CFC: D2010052 0473F31D
	v_accvgpr_read_b32 v30, a230                               // 000000009D04: D3D8401E 180001E6
	v_accvgpr_read_b32 v31, a231                               // 000000009D0C: D3D8401F 180001E7
	v_mul_f32_e32 v30, s48, v30                                // 000000009D14: 0A3C3C30
	v_mul_f32_e32 v31, s48, v31                                // 000000009D18: 0A3E3E30
	v_cmp_u_f32_e64 s[74:75], v30, v30                         // 000000009D1C: D048004A 00023D1E
	v_bfe_u32 v248, v30, 16, 1                                 // 000000009D24: D1C800F8 0205211E
	v_add3_u32 v248, v30, v248, v251                           // 000000009D2C: D1FF00F8 07EFF11E
	v_cndmask_b32_e64 v28, v248, v250, s[74:75]                // 000000009D34: D100001C 012BF5F8
	v_lshrrev_b32_e32 v28, 16, v28                             // 000000009D3C: 20383890
	v_cmp_u_f32_e64 s[74:75], v31, v31                         // 000000009D40: D048004A 00023F1F
	v_bfe_u32 v248, v31, 16, 1                                 // 000000009D48: D1C800F8 0205211F
	v_add3_u32 v248, v31, v248, v251                           // 000000009D50: D1FF00F8 07EFF11F
	v_cndmask_b32_e64 v29, v248, v250, s[74:75]                // 000000009D58: D100001D 012BF5F8
	v_and_or_b32 v83, v29, v249, v28                           // 000000009D60: D2010053 0473F31D
	v_accvgpr_read_b32 v30, a232                               // 000000009D68: D3D8401E 180001E8
	v_accvgpr_read_b32 v31, a233                               // 000000009D70: D3D8401F 180001E9
	v_mul_f32_e32 v30, s48, v30                                // 000000009D78: 0A3C3C30
	v_mul_f32_e32 v31, s48, v31                                // 000000009D7C: 0A3E3E30
	v_cmp_u_f32_e64 s[74:75], v30, v30                         // 000000009D80: D048004A 00023D1E
	v_bfe_u32 v248, v30, 16, 1                                 // 000000009D88: D1C800F8 0205211E
	v_add3_u32 v248, v30, v248, v251                           // 000000009D90: D1FF00F8 07EFF11E
	v_cndmask_b32_e64 v28, v248, v250, s[74:75]                // 000000009D98: D100001C 012BF5F8
	v_lshrrev_b32_e32 v28, 16, v28                             // 000000009DA0: 20383890
	v_cmp_u_f32_e64 s[74:75], v31, v31                         // 000000009DA4: D048004A 00023F1F
	v_bfe_u32 v248, v31, 16, 1                                 // 000000009DAC: D1C800F8 0205211F
	v_add3_u32 v248, v31, v248, v251                           // 000000009DB4: D1FF00F8 07EFF11F
	v_cndmask_b32_e64 v29, v248, v250, s[74:75]                // 000000009DBC: D100001D 012BF5F8
	v_and_or_b32 v84, v29, v249, v28                           // 000000009DC4: D2010054 0473F31D
	v_accvgpr_read_b32 v30, a234                               // 000000009DCC: D3D8401E 180001EA
	v_accvgpr_read_b32 v31, a235                               // 000000009DD4: D3D8401F 180001EB
	v_mul_f32_e32 v30, s48, v30                                // 000000009DDC: 0A3C3C30
	v_mul_f32_e32 v31, s48, v31                                // 000000009DE0: 0A3E3E30
	v_cmp_u_f32_e64 s[74:75], v30, v30                         // 000000009DE4: D048004A 00023D1E
	v_bfe_u32 v248, v30, 16, 1                                 // 000000009DEC: D1C800F8 0205211E
	v_add3_u32 v248, v30, v248, v251                           // 000000009DF4: D1FF00F8 07EFF11E
	v_cndmask_b32_e64 v28, v248, v250, s[74:75]                // 000000009DFC: D100001C 012BF5F8
	v_lshrrev_b32_e32 v28, 16, v28                             // 000000009E04: 20383890
	v_cmp_u_f32_e64 s[74:75], v31, v31                         // 000000009E08: D048004A 00023F1F
	v_bfe_u32 v248, v31, 16, 1                                 // 000000009E10: D1C800F8 0205211F
	v_add3_u32 v248, v31, v248, v251                           // 000000009E18: D1FF00F8 07EFF11F
	v_cndmask_b32_e64 v29, v248, v250, s[74:75]                // 000000009E20: D100001D 012BF5F8
	v_and_or_b32 v85, v29, v249, v28                           // 000000009E28: D2010055 0473F31D
	v_accvgpr_read_b32 v30, a236                               // 000000009E30: D3D8401E 180001EC
	v_accvgpr_read_b32 v31, a237                               // 000000009E38: D3D8401F 180001ED
	v_mul_f32_e32 v30, s48, v30                                // 000000009E40: 0A3C3C30
	v_mul_f32_e32 v31, s48, v31                                // 000000009E44: 0A3E3E30
	v_cmp_u_f32_e64 s[74:75], v30, v30                         // 000000009E48: D048004A 00023D1E
	v_bfe_u32 v248, v30, 16, 1                                 // 000000009E50: D1C800F8 0205211E
	v_add3_u32 v248, v30, v248, v251                           // 000000009E58: D1FF00F8 07EFF11E
	v_cndmask_b32_e64 v28, v248, v250, s[74:75]                // 000000009E60: D100001C 012BF5F8
	v_lshrrev_b32_e32 v28, 16, v28                             // 000000009E68: 20383890
	v_cmp_u_f32_e64 s[74:75], v31, v31                         // 000000009E6C: D048004A 00023F1F
	v_bfe_u32 v248, v31, 16, 1                                 // 000000009E74: D1C800F8 0205211F
	v_add3_u32 v248, v31, v248, v251                           // 000000009E7C: D1FF00F8 07EFF11F
	v_cndmask_b32_e64 v29, v248, v250, s[74:75]                // 000000009E84: D100001D 012BF5F8
	v_and_or_b32 v86, v29, v249, v28                           // 000000009E8C: D2010056 0473F31D
	v_accvgpr_read_b32 v30, a238                               // 000000009E94: D3D8401E 180001EE
	v_accvgpr_read_b32 v31, a239                               // 000000009E9C: D3D8401F 180001EF
	v_mul_f32_e32 v30, s48, v30                                // 000000009EA4: 0A3C3C30
	v_mul_f32_e32 v31, s48, v31                                // 000000009EA8: 0A3E3E30
	v_cmp_u_f32_e64 s[74:75], v30, v30                         // 000000009EAC: D048004A 00023D1E
	v_bfe_u32 v248, v30, 16, 1                                 // 000000009EB4: D1C800F8 0205211E
	v_add3_u32 v248, v30, v248, v251                           // 000000009EBC: D1FF00F8 07EFF11E
	v_cndmask_b32_e64 v28, v248, v250, s[74:75]                // 000000009EC4: D100001C 012BF5F8
	v_lshrrev_b32_e32 v28, 16, v28                             // 000000009ECC: 20383890
	v_cmp_u_f32_e64 s[74:75], v31, v31                         // 000000009ED0: D048004A 00023F1F
	v_bfe_u32 v248, v31, 16, 1                                 // 000000009ED8: D1C800F8 0205211F
	v_add3_u32 v248, v31, v248, v251                           // 000000009EE0: D1FF00F8 07EFF11F
	v_cndmask_b32_e64 v29, v248, v250, s[74:75]                // 000000009EE8: D100001D 012BF5F8
	v_and_or_b32 v87, v29, v249, v28                           // 000000009EF0: D2010057 0473F31D
	v_accvgpr_read_b32 v30, a240                               // 000000009EF8: D3D8401E 180001F0
	v_accvgpr_read_b32 v31, a241                               // 000000009F00: D3D8401F 180001F1
	v_mul_f32_e32 v30, s48, v30                                // 000000009F08: 0A3C3C30
	v_mul_f32_e32 v31, s48, v31                                // 000000009F0C: 0A3E3E30
	v_cmp_u_f32_e64 s[74:75], v30, v30                         // 000000009F10: D048004A 00023D1E
	v_bfe_u32 v248, v30, 16, 1                                 // 000000009F18: D1C800F8 0205211E
	v_add3_u32 v248, v30, v248, v251                           // 000000009F20: D1FF00F8 07EFF11E
	v_cndmask_b32_e64 v28, v248, v250, s[74:75]                // 000000009F28: D100001C 012BF5F8
	v_lshrrev_b32_e32 v28, 16, v28                             // 000000009F30: 20383890
	v_cmp_u_f32_e64 s[74:75], v31, v31                         // 000000009F34: D048004A 00023F1F
	v_bfe_u32 v248, v31, 16, 1                                 // 000000009F3C: D1C800F8 0205211F
	v_add3_u32 v248, v31, v248, v251                           // 000000009F44: D1FF00F8 07EFF11F
	v_cndmask_b32_e64 v29, v248, v250, s[74:75]                // 000000009F4C: D100001D 012BF5F8
	v_and_or_b32 v88, v29, v249, v28                           // 000000009F54: D2010058 0473F31D
	v_accvgpr_read_b32 v30, a242                               // 000000009F5C: D3D8401E 180001F2
	v_accvgpr_read_b32 v31, a243                               // 000000009F64: D3D8401F 180001F3
	v_mul_f32_e32 v30, s48, v30                                // 000000009F6C: 0A3C3C30
	v_mul_f32_e32 v31, s48, v31                                // 000000009F70: 0A3E3E30
	v_cmp_u_f32_e64 s[74:75], v30, v30                         // 000000009F74: D048004A 00023D1E
	v_bfe_u32 v248, v30, 16, 1                                 // 000000009F7C: D1C800F8 0205211E
	v_add3_u32 v248, v30, v248, v251                           // 000000009F84: D1FF00F8 07EFF11E
	v_cndmask_b32_e64 v28, v248, v250, s[74:75]                // 000000009F8C: D100001C 012BF5F8
	v_lshrrev_b32_e32 v28, 16, v28                             // 000000009F94: 20383890
	v_cmp_u_f32_e64 s[74:75], v31, v31                         // 000000009F98: D048004A 00023F1F
	v_bfe_u32 v248, v31, 16, 1                                 // 000000009FA0: D1C800F8 0205211F
	v_add3_u32 v248, v31, v248, v251                           // 000000009FA8: D1FF00F8 07EFF11F
	v_cndmask_b32_e64 v29, v248, v250, s[74:75]                // 000000009FB0: D100001D 012BF5F8
	v_and_or_b32 v89, v29, v249, v28                           // 000000009FB8: D2010059 0473F31D
	v_accvgpr_read_b32 v30, a244                               // 000000009FC0: D3D8401E 180001F4
	v_accvgpr_read_b32 v31, a245                               // 000000009FC8: D3D8401F 180001F5
	v_mul_f32_e32 v30, s48, v30                                // 000000009FD0: 0A3C3C30
	v_mul_f32_e32 v31, s48, v31                                // 000000009FD4: 0A3E3E30
	v_cmp_u_f32_e64 s[74:75], v30, v30                         // 000000009FD8: D048004A 00023D1E
	v_bfe_u32 v248, v30, 16, 1                                 // 000000009FE0: D1C800F8 0205211E
	v_add3_u32 v248, v30, v248, v251                           // 000000009FE8: D1FF00F8 07EFF11E
	v_cndmask_b32_e64 v28, v248, v250, s[74:75]                // 000000009FF0: D100001C 012BF5F8
	v_lshrrev_b32_e32 v28, 16, v28                             // 000000009FF8: 20383890
	v_cmp_u_f32_e64 s[74:75], v31, v31                         // 000000009FFC: D048004A 00023F1F
	v_bfe_u32 v248, v31, 16, 1                                 // 00000000A004: D1C800F8 0205211F
	v_add3_u32 v248, v31, v248, v251                           // 00000000A00C: D1FF00F8 07EFF11F
	v_cndmask_b32_e64 v29, v248, v250, s[74:75]                // 00000000A014: D100001D 012BF5F8
	v_and_or_b32 v90, v29, v249, v28                           // 00000000A01C: D201005A 0473F31D
	v_accvgpr_read_b32 v30, a246                               // 00000000A024: D3D8401E 180001F6
	v_accvgpr_read_b32 v31, a247                               // 00000000A02C: D3D8401F 180001F7
	v_mul_f32_e32 v30, s48, v30                                // 00000000A034: 0A3C3C30
	v_mul_f32_e32 v31, s48, v31                                // 00000000A038: 0A3E3E30
	v_cmp_u_f32_e64 s[74:75], v30, v30                         // 00000000A03C: D048004A 00023D1E
	v_bfe_u32 v248, v30, 16, 1                                 // 00000000A044: D1C800F8 0205211E
	v_add3_u32 v248, v30, v248, v251                           // 00000000A04C: D1FF00F8 07EFF11E
	v_cndmask_b32_e64 v28, v248, v250, s[74:75]                // 00000000A054: D100001C 012BF5F8
	v_lshrrev_b32_e32 v28, 16, v28                             // 00000000A05C: 20383890
	v_cmp_u_f32_e64 s[74:75], v31, v31                         // 00000000A060: D048004A 00023F1F
	v_bfe_u32 v248, v31, 16, 1                                 // 00000000A068: D1C800F8 0205211F
	v_add3_u32 v248, v31, v248, v251                           // 00000000A070: D1FF00F8 07EFF11F
	v_cndmask_b32_e64 v29, v248, v250, s[74:75]                // 00000000A078: D100001D 012BF5F8
	v_and_or_b32 v91, v29, v249, v28                           // 00000000A080: D201005B 0473F31D
	v_accvgpr_read_b32 v30, a248                               // 00000000A088: D3D8401E 180001F8
	v_accvgpr_read_b32 v31, a249                               // 00000000A090: D3D8401F 180001F9
	v_mul_f32_e32 v30, s48, v30                                // 00000000A098: 0A3C3C30
	v_mul_f32_e32 v31, s48, v31                                // 00000000A09C: 0A3E3E30
	v_cmp_u_f32_e64 s[74:75], v30, v30                         // 00000000A0A0: D048004A 00023D1E
	v_bfe_u32 v248, v30, 16, 1                                 // 00000000A0A8: D1C800F8 0205211E
	v_add3_u32 v248, v30, v248, v251                           // 00000000A0B0: D1FF00F8 07EFF11E
	v_cndmask_b32_e64 v28, v248, v250, s[74:75]                // 00000000A0B8: D100001C 012BF5F8
	v_lshrrev_b32_e32 v28, 16, v28                             // 00000000A0C0: 20383890
	v_cmp_u_f32_e64 s[74:75], v31, v31                         // 00000000A0C4: D048004A 00023F1F
	v_bfe_u32 v248, v31, 16, 1                                 // 00000000A0CC: D1C800F8 0205211F
	v_add3_u32 v248, v31, v248, v251                           // 00000000A0D4: D1FF00F8 07EFF11F
	v_cndmask_b32_e64 v29, v248, v250, s[74:75]                // 00000000A0DC: D100001D 012BF5F8
	v_and_or_b32 v92, v29, v249, v28                           // 00000000A0E4: D201005C 0473F31D
	v_accvgpr_read_b32 v30, a250                               // 00000000A0EC: D3D8401E 180001FA
	v_accvgpr_read_b32 v31, a251                               // 00000000A0F4: D3D8401F 180001FB
	v_mul_f32_e32 v30, s48, v30                                // 00000000A0FC: 0A3C3C30
	v_mul_f32_e32 v31, s48, v31                                // 00000000A100: 0A3E3E30
	v_cmp_u_f32_e64 s[74:75], v30, v30                         // 00000000A104: D048004A 00023D1E
	v_bfe_u32 v248, v30, 16, 1                                 // 00000000A10C: D1C800F8 0205211E
	v_add3_u32 v248, v30, v248, v251                           // 00000000A114: D1FF00F8 07EFF11E
	v_cndmask_b32_e64 v28, v248, v250, s[74:75]                // 00000000A11C: D100001C 012BF5F8
	v_lshrrev_b32_e32 v28, 16, v28                             // 00000000A124: 20383890
	v_cmp_u_f32_e64 s[74:75], v31, v31                         // 00000000A128: D048004A 00023F1F
	v_bfe_u32 v248, v31, 16, 1                                 // 00000000A130: D1C800F8 0205211F
	v_add3_u32 v248, v31, v248, v251                           // 00000000A138: D1FF00F8 07EFF11F
	v_cndmask_b32_e64 v29, v248, v250, s[74:75]                // 00000000A140: D100001D 012BF5F8
	v_and_or_b32 v93, v29, v249, v28                           // 00000000A148: D201005D 0473F31D
	v_accvgpr_read_b32 v30, a252                               // 00000000A150: D3D8401E 180001FC
	v_accvgpr_read_b32 v31, a253                               // 00000000A158: D3D8401F 180001FD
	v_mul_f32_e32 v30, s48, v30                                // 00000000A160: 0A3C3C30
	v_mul_f32_e32 v31, s48, v31                                // 00000000A164: 0A3E3E30
	v_cmp_u_f32_e64 s[74:75], v30, v30                         // 00000000A168: D048004A 00023D1E
	v_bfe_u32 v248, v30, 16, 1                                 // 00000000A170: D1C800F8 0205211E
	v_add3_u32 v248, v30, v248, v251                           // 00000000A178: D1FF00F8 07EFF11E
	v_cndmask_b32_e64 v28, v248, v250, s[74:75]                // 00000000A180: D100001C 012BF5F8
	v_lshrrev_b32_e32 v28, 16, v28                             // 00000000A188: 20383890
	v_cmp_u_f32_e64 s[74:75], v31, v31                         // 00000000A18C: D048004A 00023F1F
	v_bfe_u32 v248, v31, 16, 1                                 // 00000000A194: D1C800F8 0205211F
	v_add3_u32 v248, v31, v248, v251                           // 00000000A19C: D1FF00F8 07EFF11F
	v_cndmask_b32_e64 v29, v248, v250, s[74:75]                // 00000000A1A4: D100001D 012BF5F8
	v_and_or_b32 v94, v29, v249, v28                           // 00000000A1AC: D201005E 0473F31D
	v_accvgpr_read_b32 v30, a254                               // 00000000A1B4: D3D8401E 180001FE
	v_accvgpr_read_b32 v31, a255                               // 00000000A1BC: D3D8401F 180001FF
	v_mul_f32_e32 v30, s48, v30                                // 00000000A1C4: 0A3C3C30
	v_mul_f32_e32 v31, s48, v31                                // 00000000A1C8: 0A3E3E30
	v_cmp_u_f32_e64 s[74:75], v30, v30                         // 00000000A1CC: D048004A 00023D1E
	v_bfe_u32 v248, v30, 16, 1                                 // 00000000A1D4: D1C800F8 0205211E
	v_add3_u32 v248, v30, v248, v251                           // 00000000A1DC: D1FF00F8 07EFF11E
	v_cndmask_b32_e64 v28, v248, v250, s[74:75]                // 00000000A1E4: D100001C 012BF5F8
	v_lshrrev_b32_e32 v28, 16, v28                             // 00000000A1EC: 20383890
	v_cmp_u_f32_e64 s[74:75], v31, v31                         // 00000000A1F0: D048004A 00023F1F
	v_bfe_u32 v248, v31, 16, 1                                 // 00000000A1F8: D1C800F8 0205211F
	v_add3_u32 v248, v31, v248, v251                           // 00000000A200: D1FF00F8 07EFF11F
	v_cndmask_b32_e64 v29, v248, v250, s[74:75]                // 00000000A208: D100001D 012BF5F8
	v_and_or_b32 v95, v29, v249, v28                           // 00000000A210: D201005F 0473F31D
	ds_write_b64 v27, v[80:81] offset:33792                    // 00000000A218: D89A8400 0000501B
	ds_write_b64 v27, v[82:83] offset:34320                    // 00000000A220: D89A8610 0000521B
	ds_write_b64 v27, v[84:85] offset:34848                    // 00000000A228: D89A8820 0000541B
	ds_write_b64 v27, v[86:87] offset:35376                    // 00000000A230: D89A8A30 0000561B
	ds_write_b64 v27, v[88:89] offset:35904                    // 00000000A238: D89A8C40 0000581B
	ds_write_b64 v27, v[90:91] offset:36432                    // 00000000A240: D89A8E50 00005A1B
	ds_write_b64 v27, v[92:93] offset:36960                    // 00000000A248: D89A9060 00005C1B
	ds_write_b64 v27, v[94:95] offset:37488                    // 00000000A250: D89A9270 00005E1B
	s_waitcnt lgkmcnt(0)                                       // 00000000A258: BF8CC07F
	s_barrier                                                  // 00000000A25C: BF8A0000
	ds_read_b64 v[80:81], v26 offset:33792                     // 00000000A260: D8EC8400 5000001A
	ds_read_b64 v[82:83], v26 offset:33920                     // 00000000A268: D8EC8480 5200001A
	ds_read_b64 v[84:85], v26 offset:33824                     // 00000000A270: D8EC8420 5400001A
	ds_read_b64 v[86:87], v26 offset:33952                     // 00000000A278: D8EC84A0 5600001A
	ds_read_b64 v[88:89], v26 offset:33856                     // 00000000A280: D8EC8440 5800001A
	ds_read_b64 v[90:91], v26 offset:33984                     // 00000000A288: D8EC84C0 5A00001A
	ds_read_b64 v[92:93], v26 offset:33888                     // 00000000A290: D8EC8460 5C00001A
	ds_read_b64 v[94:95], v26 offset:34016                     // 00000000A298: D8EC84E0 5E00001A
	s_waitcnt lgkmcnt(0)                                       // 00000000A2A0: BF8CC07F
	buffer_store_dwordx4 v[80:83], v5, s[36:39], 0 idxen       // 00000000A2A4: E07C2000 80095005
	v_add_u32_e32 v5, s46, v5                                  // 00000000A2AC: 680A0A2E
	buffer_store_dwordx4 v[84:87], v5, s[36:39], 0 idxen       // 00000000A2B0: E07C2000 80095405
	v_add_u32_e32 v5, s46, v5                                  // 00000000A2B8: 680A0A2E
	buffer_store_dwordx4 v[88:91], v5, s[36:39], 0 idxen       // 00000000A2BC: E07C2000 80095805
	v_add_u32_e32 v5, s46, v5                                  // 00000000A2C4: 680A0A2E
	buffer_store_dwordx4 v[92:95], v5, s[36:39], 0 idxen       // 00000000A2C8: E07C2000 80095C05
	v_add_u32_e32 v5, s46, v5                                  // 00000000A2D0: 680A0A2E
	s_mul_i32 s60, 12, s46                                     // 00000000A2D4: 923C2E8C
	v_add_u32_e32 v5, s60, v5                                  // 00000000A2D8: 680A0A3C
	s_barrier                                                  // 00000000A2DC: BF8A0000
	s_cmp_ge_i32 3, s73                                        // 00000000A2E0: BF034983
	s_cbranch_scc1 label_193A                                  // 00000000A2E4: BF850000

000000000000a2e8 <label_193A>:
	v_mov_b32_e32 v30, v152                                    // 00000000A2E8: 7E3C0398
	v_mov_b32_e32 v31, v153                                    // 00000000A2EC: 7E3E0399
	v_cmp_u_f32_e64 s[74:75], v30, v30                         // 00000000A2F0: D048004A 00023D1E
	v_bfe_u32 v248, v30, 16, 1                                 // 00000000A2F8: D1C800F8 0205211E
	v_add3_u32 v248, v30, v248, v251                           // 00000000A300: D1FF00F8 07EFF11E
	v_cndmask_b32_e64 v28, v248, v250, s[74:75]                // 00000000A308: D100001C 012BF5F8
	v_lshrrev_b32_e32 v28, 16, v28                             // 00000000A310: 20383890
	v_cmp_u_f32_e64 s[74:75], v31, v31                         // 00000000A314: D048004A 00023F1F
	v_bfe_u32 v248, v31, 16, 1                                 // 00000000A31C: D1C800F8 0205211F
	v_add3_u32 v248, v31, v248, v251                           // 00000000A324: D1FF00F8 07EFF11F
	v_cndmask_b32_e64 v29, v248, v250, s[74:75]                // 00000000A32C: D100001D 012BF5F8
	v_and_or_b32 v152, v29, v249, v28                          // 00000000A334: D2010098 0473F31D
	v_mov_b32_e32 v30, v154                                    // 00000000A33C: 7E3C039A
	v_mov_b32_e32 v31, v155                                    // 00000000A340: 7E3E039B
	v_cmp_u_f32_e64 s[74:75], v30, v30                         // 00000000A344: D048004A 00023D1E
	v_bfe_u32 v248, v30, 16, 1                                 // 00000000A34C: D1C800F8 0205211E
	v_add3_u32 v248, v30, v248, v251                           // 00000000A354: D1FF00F8 07EFF11E
	v_cndmask_b32_e64 v28, v248, v250, s[74:75]                // 00000000A35C: D100001C 012BF5F8
	v_lshrrev_b32_e32 v28, 16, v28                             // 00000000A364: 20383890
	v_cmp_u_f32_e64 s[74:75], v31, v31                         // 00000000A368: D048004A 00023F1F
	v_bfe_u32 v248, v31, 16, 1                                 // 00000000A370: D1C800F8 0205211F
	v_add3_u32 v248, v31, v248, v251                           // 00000000A378: D1FF00F8 07EFF11F
	v_cndmask_b32_e64 v29, v248, v250, s[74:75]                // 00000000A380: D100001D 012BF5F8
	v_and_or_b32 v153, v29, v249, v28                          // 00000000A388: D2010099 0473F31D
	v_mov_b32_e32 v30, v156                                    // 00000000A390: 7E3C039C
	v_mov_b32_e32 v31, v157                                    // 00000000A394: 7E3E039D
	v_cmp_u_f32_e64 s[74:75], v30, v30                         // 00000000A398: D048004A 00023D1E
	v_bfe_u32 v248, v30, 16, 1                                 // 00000000A3A0: D1C800F8 0205211E
	v_add3_u32 v248, v30, v248, v251                           // 00000000A3A8: D1FF00F8 07EFF11E
	v_cndmask_b32_e64 v28, v248, v250, s[74:75]                // 00000000A3B0: D100001C 012BF5F8
	v_lshrrev_b32_e32 v28, 16, v28                             // 00000000A3B8: 20383890
	v_cmp_u_f32_e64 s[74:75], v31, v31                         // 00000000A3BC: D048004A 00023F1F
	v_bfe_u32 v248, v31, 16, 1                                 // 00000000A3C4: D1C800F8 0205211F
	v_add3_u32 v248, v31, v248, v251                           // 00000000A3CC: D1FF00F8 07EFF11F
	v_cndmask_b32_e64 v29, v248, v250, s[74:75]                // 00000000A3D4: D100001D 012BF5F8
	v_and_or_b32 v154, v29, v249, v28                          // 00000000A3DC: D201009A 0473F31D
	v_mov_b32_e32 v30, v158                                    // 00000000A3E4: 7E3C039E
	v_mov_b32_e32 v31, v159                                    // 00000000A3E8: 7E3E039F
	v_cmp_u_f32_e64 s[74:75], v30, v30                         // 00000000A3EC: D048004A 00023D1E
	v_bfe_u32 v248, v30, 16, 1                                 // 00000000A3F4: D1C800F8 0205211E
	v_add3_u32 v248, v30, v248, v251                           // 00000000A3FC: D1FF00F8 07EFF11E
	v_cndmask_b32_e64 v28, v248, v250, s[74:75]                // 00000000A404: D100001C 012BF5F8
	v_lshrrev_b32_e32 v28, 16, v28                             // 00000000A40C: 20383890
	v_cmp_u_f32_e64 s[74:75], v31, v31                         // 00000000A410: D048004A 00023F1F
	v_bfe_u32 v248, v31, 16, 1                                 // 00000000A418: D1C800F8 0205211F
	v_add3_u32 v248, v31, v248, v251                           // 00000000A420: D1FF00F8 07EFF11F
	v_cndmask_b32_e64 v29, v248, v250, s[74:75]                // 00000000A428: D100001D 012BF5F8
	v_and_or_b32 v155, v29, v249, v28                          // 00000000A430: D201009B 0473F31D
	v_mov_b32_e32 v30, v160                                    // 00000000A438: 7E3C03A0
	v_mov_b32_e32 v31, v161                                    // 00000000A43C: 7E3E03A1
	v_cmp_u_f32_e64 s[74:75], v30, v30                         // 00000000A440: D048004A 00023D1E
	v_bfe_u32 v248, v30, 16, 1                                 // 00000000A448: D1C800F8 0205211E
	v_add3_u32 v248, v30, v248, v251                           // 00000000A450: D1FF00F8 07EFF11E
	v_cndmask_b32_e64 v28, v248, v250, s[74:75]                // 00000000A458: D100001C 012BF5F8
	v_lshrrev_b32_e32 v28, 16, v28                             // 00000000A460: 20383890
	v_cmp_u_f32_e64 s[74:75], v31, v31                         // 00000000A464: D048004A 00023F1F
	v_bfe_u32 v248, v31, 16, 1                                 // 00000000A46C: D1C800F8 0205211F
	v_add3_u32 v248, v31, v248, v251                           // 00000000A474: D1FF00F8 07EFF11F
	v_cndmask_b32_e64 v29, v248, v250, s[74:75]                // 00000000A47C: D100001D 012BF5F8
	v_and_or_b32 v156, v29, v249, v28                          // 00000000A484: D201009C 0473F31D
	v_mov_b32_e32 v30, v162                                    // 00000000A48C: 7E3C03A2
	v_mov_b32_e32 v31, v163                                    // 00000000A490: 7E3E03A3
	v_cmp_u_f32_e64 s[74:75], v30, v30                         // 00000000A494: D048004A 00023D1E
	v_bfe_u32 v248, v30, 16, 1                                 // 00000000A49C: D1C800F8 0205211E
	v_add3_u32 v248, v30, v248, v251                           // 00000000A4A4: D1FF00F8 07EFF11E
	v_cndmask_b32_e64 v28, v248, v250, s[74:75]                // 00000000A4AC: D100001C 012BF5F8
	v_lshrrev_b32_e32 v28, 16, v28                             // 00000000A4B4: 20383890
	v_cmp_u_f32_e64 s[74:75], v31, v31                         // 00000000A4B8: D048004A 00023F1F
	v_bfe_u32 v248, v31, 16, 1                                 // 00000000A4C0: D1C800F8 0205211F
	v_add3_u32 v248, v31, v248, v251                           // 00000000A4C8: D1FF00F8 07EFF11F
	v_cndmask_b32_e64 v29, v248, v250, s[74:75]                // 00000000A4D0: D100001D 012BF5F8
	v_and_or_b32 v157, v29, v249, v28                          // 00000000A4D8: D201009D 0473F31D
	v_mov_b32_e32 v30, v164                                    // 00000000A4E0: 7E3C03A4
	v_mov_b32_e32 v31, v165                                    // 00000000A4E4: 7E3E03A5
	v_cmp_u_f32_e64 s[74:75], v30, v30                         // 00000000A4E8: D048004A 00023D1E
	v_bfe_u32 v248, v30, 16, 1                                 // 00000000A4F0: D1C800F8 0205211E
	v_add3_u32 v248, v30, v248, v251                           // 00000000A4F8: D1FF00F8 07EFF11E
	v_cndmask_b32_e64 v28, v248, v250, s[74:75]                // 00000000A500: D100001C 012BF5F8
	v_lshrrev_b32_e32 v28, 16, v28                             // 00000000A508: 20383890
	v_cmp_u_f32_e64 s[74:75], v31, v31                         // 00000000A50C: D048004A 00023F1F
	v_bfe_u32 v248, v31, 16, 1                                 // 00000000A514: D1C800F8 0205211F
	v_add3_u32 v248, v31, v248, v251                           // 00000000A51C: D1FF00F8 07EFF11F
	v_cndmask_b32_e64 v29, v248, v250, s[74:75]                // 00000000A524: D100001D 012BF5F8
	v_and_or_b32 v158, v29, v249, v28                          // 00000000A52C: D201009E 0473F31D
	v_mov_b32_e32 v30, v166                                    // 00000000A534: 7E3C03A6
	v_mov_b32_e32 v31, v167                                    // 00000000A538: 7E3E03A7
	v_cmp_u_f32_e64 s[74:75], v30, v30                         // 00000000A53C: D048004A 00023D1E
	v_bfe_u32 v248, v30, 16, 1                                 // 00000000A544: D1C800F8 0205211E
	v_add3_u32 v248, v30, v248, v251                           // 00000000A54C: D1FF00F8 07EFF11E
	v_cndmask_b32_e64 v28, v248, v250, s[74:75]                // 00000000A554: D100001C 012BF5F8
	v_lshrrev_b32_e32 v28, 16, v28                             // 00000000A55C: 20383890
	v_cmp_u_f32_e64 s[74:75], v31, v31                         // 00000000A560: D048004A 00023F1F
	v_bfe_u32 v248, v31, 16, 1                                 // 00000000A568: D1C800F8 0205211F
	v_add3_u32 v248, v31, v248, v251                           // 00000000A570: D1FF00F8 07EFF11F
	v_cndmask_b32_e64 v29, v248, v250, s[74:75]                // 00000000A578: D100001D 012BF5F8
	v_and_or_b32 v159, v29, v249, v28                          // 00000000A580: D201009F 0473F31D
	v_mov_b32_e32 v30, v168                                    // 00000000A588: 7E3C03A8
	v_mov_b32_e32 v31, v169                                    // 00000000A58C: 7E3E03A9
	v_cmp_u_f32_e64 s[74:75], v30, v30                         // 00000000A590: D048004A 00023D1E
	v_bfe_u32 v248, v30, 16, 1                                 // 00000000A598: D1C800F8 0205211E
	v_add3_u32 v248, v30, v248, v251                           // 00000000A5A0: D1FF00F8 07EFF11E
	v_cndmask_b32_e64 v28, v248, v250, s[74:75]                // 00000000A5A8: D100001C 012BF5F8
	v_lshrrev_b32_e32 v28, 16, v28                             // 00000000A5B0: 20383890
	v_cmp_u_f32_e64 s[74:75], v31, v31                         // 00000000A5B4: D048004A 00023F1F
	v_bfe_u32 v248, v31, 16, 1                                 // 00000000A5BC: D1C800F8 0205211F
	v_add3_u32 v248, v31, v248, v251                           // 00000000A5C4: D1FF00F8 07EFF11F
	v_cndmask_b32_e64 v29, v248, v250, s[74:75]                // 00000000A5CC: D100001D 012BF5F8
	v_and_or_b32 v160, v29, v249, v28                          // 00000000A5D4: D20100A0 0473F31D
	v_mov_b32_e32 v30, v170                                    // 00000000A5DC: 7E3C03AA
	v_mov_b32_e32 v31, v171                                    // 00000000A5E0: 7E3E03AB
	v_cmp_u_f32_e64 s[74:75], v30, v30                         // 00000000A5E4: D048004A 00023D1E
	v_bfe_u32 v248, v30, 16, 1                                 // 00000000A5EC: D1C800F8 0205211E
	v_add3_u32 v248, v30, v248, v251                           // 00000000A5F4: D1FF00F8 07EFF11E
	v_cndmask_b32_e64 v28, v248, v250, s[74:75]                // 00000000A5FC: D100001C 012BF5F8
	v_lshrrev_b32_e32 v28, 16, v28                             // 00000000A604: 20383890
	v_cmp_u_f32_e64 s[74:75], v31, v31                         // 00000000A608: D048004A 00023F1F
	v_bfe_u32 v248, v31, 16, 1                                 // 00000000A610: D1C800F8 0205211F
	v_add3_u32 v248, v31, v248, v251                           // 00000000A618: D1FF00F8 07EFF11F
	v_cndmask_b32_e64 v29, v248, v250, s[74:75]                // 00000000A620: D100001D 012BF5F8
	v_and_or_b32 v161, v29, v249, v28                          // 00000000A628: D20100A1 0473F31D
	v_mov_b32_e32 v30, v172                                    // 00000000A630: 7E3C03AC
	v_mov_b32_e32 v31, v173                                    // 00000000A634: 7E3E03AD
	v_cmp_u_f32_e64 s[74:75], v30, v30                         // 00000000A638: D048004A 00023D1E
	v_bfe_u32 v248, v30, 16, 1                                 // 00000000A640: D1C800F8 0205211E
	v_add3_u32 v248, v30, v248, v251                           // 00000000A648: D1FF00F8 07EFF11E
	v_cndmask_b32_e64 v28, v248, v250, s[74:75]                // 00000000A650: D100001C 012BF5F8
	v_lshrrev_b32_e32 v28, 16, v28                             // 00000000A658: 20383890
	v_cmp_u_f32_e64 s[74:75], v31, v31                         // 00000000A65C: D048004A 00023F1F
	v_bfe_u32 v248, v31, 16, 1                                 // 00000000A664: D1C800F8 0205211F
	v_add3_u32 v248, v31, v248, v251                           // 00000000A66C: D1FF00F8 07EFF11F
	v_cndmask_b32_e64 v29, v248, v250, s[74:75]                // 00000000A674: D100001D 012BF5F8
	v_and_or_b32 v162, v29, v249, v28                          // 00000000A67C: D20100A2 0473F31D
	v_mov_b32_e32 v30, v174                                    // 00000000A684: 7E3C03AE
	v_mov_b32_e32 v31, v175                                    // 00000000A688: 7E3E03AF
	v_cmp_u_f32_e64 s[74:75], v30, v30                         // 00000000A68C: D048004A 00023D1E
	v_bfe_u32 v248, v30, 16, 1                                 // 00000000A694: D1C800F8 0205211E
	v_add3_u32 v248, v30, v248, v251                           // 00000000A69C: D1FF00F8 07EFF11E
	v_cndmask_b32_e64 v28, v248, v250, s[74:75]                // 00000000A6A4: D100001C 012BF5F8
	v_lshrrev_b32_e32 v28, 16, v28                             // 00000000A6AC: 20383890
	v_cmp_u_f32_e64 s[74:75], v31, v31                         // 00000000A6B0: D048004A 00023F1F
	v_bfe_u32 v248, v31, 16, 1                                 // 00000000A6B8: D1C800F8 0205211F
	v_add3_u32 v248, v31, v248, v251                           // 00000000A6C0: D1FF00F8 07EFF11F
	v_cndmask_b32_e64 v29, v248, v250, s[74:75]                // 00000000A6C8: D100001D 012BF5F8
	v_and_or_b32 v163, v29, v249, v28                          // 00000000A6D0: D20100A3 0473F31D
	v_mov_b32_e32 v30, v176                                    // 00000000A6D8: 7E3C03B0
	v_mov_b32_e32 v31, v177                                    // 00000000A6DC: 7E3E03B1
	v_cmp_u_f32_e64 s[74:75], v30, v30                         // 00000000A6E0: D048004A 00023D1E
	v_bfe_u32 v248, v30, 16, 1                                 // 00000000A6E8: D1C800F8 0205211E
	v_add3_u32 v248, v30, v248, v251                           // 00000000A6F0: D1FF00F8 07EFF11E
	v_cndmask_b32_e64 v28, v248, v250, s[74:75]                // 00000000A6F8: D100001C 012BF5F8
	v_lshrrev_b32_e32 v28, 16, v28                             // 00000000A700: 20383890
	v_cmp_u_f32_e64 s[74:75], v31, v31                         // 00000000A704: D048004A 00023F1F
	v_bfe_u32 v248, v31, 16, 1                                 // 00000000A70C: D1C800F8 0205211F
	v_add3_u32 v248, v31, v248, v251                           // 00000000A714: D1FF00F8 07EFF11F
	v_cndmask_b32_e64 v29, v248, v250, s[74:75]                // 00000000A71C: D100001D 012BF5F8
	v_and_or_b32 v164, v29, v249, v28                          // 00000000A724: D20100A4 0473F31D
	v_mov_b32_e32 v30, v178                                    // 00000000A72C: 7E3C03B2
	v_mov_b32_e32 v31, v179                                    // 00000000A730: 7E3E03B3
	v_cmp_u_f32_e64 s[74:75], v30, v30                         // 00000000A734: D048004A 00023D1E
	v_bfe_u32 v248, v30, 16, 1                                 // 00000000A73C: D1C800F8 0205211E
	v_add3_u32 v248, v30, v248, v251                           // 00000000A744: D1FF00F8 07EFF11E
	v_cndmask_b32_e64 v28, v248, v250, s[74:75]                // 00000000A74C: D100001C 012BF5F8
	v_lshrrev_b32_e32 v28, 16, v28                             // 00000000A754: 20383890
	v_cmp_u_f32_e64 s[74:75], v31, v31                         // 00000000A758: D048004A 00023F1F
	v_bfe_u32 v248, v31, 16, 1                                 // 00000000A760: D1C800F8 0205211F
	v_add3_u32 v248, v31, v248, v251                           // 00000000A768: D1FF00F8 07EFF11F
	v_cndmask_b32_e64 v29, v248, v250, s[74:75]                // 00000000A770: D100001D 012BF5F8
	v_and_or_b32 v165, v29, v249, v28                          // 00000000A778: D20100A5 0473F31D
	v_mov_b32_e32 v30, v180                                    // 00000000A780: 7E3C03B4
	v_mov_b32_e32 v31, v181                                    // 00000000A784: 7E3E03B5
	v_cmp_u_f32_e64 s[74:75], v30, v30                         // 00000000A788: D048004A 00023D1E
	v_bfe_u32 v248, v30, 16, 1                                 // 00000000A790: D1C800F8 0205211E
	v_add3_u32 v248, v30, v248, v251                           // 00000000A798: D1FF00F8 07EFF11E
	v_cndmask_b32_e64 v28, v248, v250, s[74:75]                // 00000000A7A0: D100001C 012BF5F8
	v_lshrrev_b32_e32 v28, 16, v28                             // 00000000A7A8: 20383890
	v_cmp_u_f32_e64 s[74:75], v31, v31                         // 00000000A7AC: D048004A 00023F1F
	v_bfe_u32 v248, v31, 16, 1                                 // 00000000A7B4: D1C800F8 0205211F
	v_add3_u32 v248, v31, v248, v251                           // 00000000A7BC: D1FF00F8 07EFF11F
	v_cndmask_b32_e64 v29, v248, v250, s[74:75]                // 00000000A7C4: D100001D 012BF5F8
	v_and_or_b32 v166, v29, v249, v28                          // 00000000A7CC: D20100A6 0473F31D
	v_mov_b32_e32 v30, v182                                    // 00000000A7D4: 7E3C03B6
	v_mov_b32_e32 v31, v183                                    // 00000000A7D8: 7E3E03B7
	v_cmp_u_f32_e64 s[74:75], v30, v30                         // 00000000A7DC: D048004A 00023D1E
	v_bfe_u32 v248, v30, 16, 1                                 // 00000000A7E4: D1C800F8 0205211E
	v_add3_u32 v248, v30, v248, v251                           // 00000000A7EC: D1FF00F8 07EFF11E
	v_cndmask_b32_e64 v28, v248, v250, s[74:75]                // 00000000A7F4: D100001C 012BF5F8
	v_lshrrev_b32_e32 v28, 16, v28                             // 00000000A7FC: 20383890
	v_cmp_u_f32_e64 s[74:75], v31, v31                         // 00000000A800: D048004A 00023F1F
	v_bfe_u32 v248, v31, 16, 1                                 // 00000000A808: D1C800F8 0205211F
	v_add3_u32 v248, v31, v248, v251                           // 00000000A810: D1FF00F8 07EFF11F
	v_cndmask_b32_e64 v29, v248, v250, s[74:75]                // 00000000A818: D100001D 012BF5F8
	v_and_or_b32 v167, v29, v249, v28                          // 00000000A820: D20100A7 0473F31D
	ds_write_b64 v27, v[152:153]                               // 00000000A828: D89A0000 0000981B
	ds_write_b64 v27, v[154:155] offset:528                    // 00000000A830: D89A0210 00009A1B
	ds_write_b64 v27, v[156:157] offset:1056                   // 00000000A838: D89A0420 00009C1B
	ds_write_b64 v27, v[158:159] offset:1584                   // 00000000A840: D89A0630 00009E1B
	ds_write_b64 v27, v[160:161] offset:2112                   // 00000000A848: D89A0840 0000A01B
	ds_write_b64 v27, v[162:163] offset:2640                   // 00000000A850: D89A0A50 0000A21B
	ds_write_b64 v27, v[164:165] offset:3168                   // 00000000A858: D89A0C60 0000A41B
	ds_write_b64 v27, v[166:167] offset:3696                   // 00000000A860: D89A0E70 0000A61B
	s_waitcnt lgkmcnt(0)                                       // 00000000A868: BF8CC07F
	s_barrier                                                  // 00000000A86C: BF8A0000
	ds_read_b64 v[152:153], v26                                // 00000000A870: D8EC0000 9800001A
	ds_read_b64 v[154:155], v26 offset:128                     // 00000000A878: D8EC0080 9A00001A
	ds_read_b64 v[156:157], v26 offset:32                      // 00000000A880: D8EC0020 9C00001A
	ds_read_b64 v[158:159], v26 offset:160                     // 00000000A888: D8EC00A0 9E00001A
	ds_read_b64 v[160:161], v26 offset:64                      // 00000000A890: D8EC0040 A000001A
	ds_read_b64 v[162:163], v26 offset:192                     // 00000000A898: D8EC00C0 A200001A
	ds_read_b64 v[164:165], v26 offset:96                      // 00000000A8A0: D8EC0060 A400001A
	ds_read_b64 v[166:167], v26 offset:224                     // 00000000A8A8: D8EC00E0 A600001A
	s_waitcnt lgkmcnt(0)                                       // 00000000A8B0: BF8CC07F
	buffer_store_dwordx4 v[152:155], v10, s[40:43], 0 idxen    // 00000000A8B4: E07C2000 800A980A
	v_add_u32_e32 v10, s46, v10                                // 00000000A8BC: 6814142E
	buffer_store_dwordx4 v[156:159], v10, s[40:43], 0 idxen    // 00000000A8C0: E07C2000 800A9C0A
	v_add_u32_e32 v10, s46, v10                                // 00000000A8C8: 6814142E
	buffer_store_dwordx4 v[160:163], v10, s[40:43], 0 idxen    // 00000000A8CC: E07C2000 800AA00A
	v_add_u32_e32 v10, s46, v10                                // 00000000A8D4: 6814142E
	buffer_store_dwordx4 v[164:167], v10, s[40:43], 0 idxen    // 00000000A8D8: E07C2000 800AA40A
	v_add_u32_e32 v10, s46, v10                                // 00000000A8E0: 6814142E
	s_mul_i32 s60, 12, s46                                     // 00000000A8E4: 923C2E8C
	v_add_u32_e32 v10, s60, v10                                // 00000000A8E8: 6814143C
	s_cmp_ge_i32 1, s73                                        // 00000000A8EC: BF034981
	s_cbranch_scc1 label_1DC3                                  // 00000000A8F0: BF850306
	v_mov_b32_e32 v30, v184                                    // 00000000A8F4: 7E3C03B8
	v_mov_b32_e32 v31, v185                                    // 00000000A8F8: 7E3E03B9
	v_cmp_u_f32_e64 s[74:75], v30, v30                         // 00000000A8FC: D048004A 00023D1E
	v_bfe_u32 v248, v30, 16, 1                                 // 00000000A904: D1C800F8 0205211E
	v_add3_u32 v248, v30, v248, v251                           // 00000000A90C: D1FF00F8 07EFF11E
	v_cndmask_b32_e64 v28, v248, v250, s[74:75]                // 00000000A914: D100001C 012BF5F8
	v_lshrrev_b32_e32 v28, 16, v28                             // 00000000A91C: 20383890
	v_cmp_u_f32_e64 s[74:75], v31, v31                         // 00000000A920: D048004A 00023F1F
	v_bfe_u32 v248, v31, 16, 1                                 // 00000000A928: D1C800F8 0205211F
	v_add3_u32 v248, v31, v248, v251                           // 00000000A930: D1FF00F8 07EFF11F
	v_cndmask_b32_e64 v29, v248, v250, s[74:75]                // 00000000A938: D100001D 012BF5F8
	v_and_or_b32 v168, v29, v249, v28                          // 00000000A940: D20100A8 0473F31D
	v_mov_b32_e32 v30, v186                                    // 00000000A948: 7E3C03BA
	v_mov_b32_e32 v31, v187                                    // 00000000A94C: 7E3E03BB
	v_cmp_u_f32_e64 s[74:75], v30, v30                         // 00000000A950: D048004A 00023D1E
	v_bfe_u32 v248, v30, 16, 1                                 // 00000000A958: D1C800F8 0205211E
	v_add3_u32 v248, v30, v248, v251                           // 00000000A960: D1FF00F8 07EFF11E
	v_cndmask_b32_e64 v28, v248, v250, s[74:75]                // 00000000A968: D100001C 012BF5F8
	v_lshrrev_b32_e32 v28, 16, v28                             // 00000000A970: 20383890
	v_cmp_u_f32_e64 s[74:75], v31, v31                         // 00000000A974: D048004A 00023F1F
	v_bfe_u32 v248, v31, 16, 1                                 // 00000000A97C: D1C800F8 0205211F
	v_add3_u32 v248, v31, v248, v251                           // 00000000A984: D1FF00F8 07EFF11F
	v_cndmask_b32_e64 v29, v248, v250, s[74:75]                // 00000000A98C: D100001D 012BF5F8
	v_and_or_b32 v169, v29, v249, v28                          // 00000000A994: D20100A9 0473F31D
	v_mov_b32_e32 v30, v188                                    // 00000000A99C: 7E3C03BC
	v_mov_b32_e32 v31, v189                                    // 00000000A9A0: 7E3E03BD
	v_cmp_u_f32_e64 s[74:75], v30, v30                         // 00000000A9A4: D048004A 00023D1E
	v_bfe_u32 v248, v30, 16, 1                                 // 00000000A9AC: D1C800F8 0205211E
	v_add3_u32 v248, v30, v248, v251                           // 00000000A9B4: D1FF00F8 07EFF11E
	v_cndmask_b32_e64 v28, v248, v250, s[74:75]                // 00000000A9BC: D100001C 012BF5F8
	v_lshrrev_b32_e32 v28, 16, v28                             // 00000000A9C4: 20383890
	v_cmp_u_f32_e64 s[74:75], v31, v31                         // 00000000A9C8: D048004A 00023F1F
	v_bfe_u32 v248, v31, 16, 1                                 // 00000000A9D0: D1C800F8 0205211F
	v_add3_u32 v248, v31, v248, v251                           // 00000000A9D8: D1FF00F8 07EFF11F
	v_cndmask_b32_e64 v29, v248, v250, s[74:75]                // 00000000A9E0: D100001D 012BF5F8
	v_and_or_b32 v170, v29, v249, v28                          // 00000000A9E8: D20100AA 0473F31D
	v_mov_b32_e32 v30, v190                                    // 00000000A9F0: 7E3C03BE
	v_mov_b32_e32 v31, v191                                    // 00000000A9F4: 7E3E03BF
	v_cmp_u_f32_e64 s[74:75], v30, v30                         // 00000000A9F8: D048004A 00023D1E
	v_bfe_u32 v248, v30, 16, 1                                 // 00000000AA00: D1C800F8 0205211E
	v_add3_u32 v248, v30, v248, v251                           // 00000000AA08: D1FF00F8 07EFF11E
	v_cndmask_b32_e64 v28, v248, v250, s[74:75]                // 00000000AA10: D100001C 012BF5F8
	v_lshrrev_b32_e32 v28, 16, v28                             // 00000000AA18: 20383890
	v_cmp_u_f32_e64 s[74:75], v31, v31                         // 00000000AA1C: D048004A 00023F1F
	v_bfe_u32 v248, v31, 16, 1                                 // 00000000AA24: D1C800F8 0205211F
	v_add3_u32 v248, v31, v248, v251                           // 00000000AA2C: D1FF00F8 07EFF11F
	v_cndmask_b32_e64 v29, v248, v250, s[74:75]                // 00000000AA34: D100001D 012BF5F8
	v_and_or_b32 v171, v29, v249, v28                          // 00000000AA3C: D20100AB 0473F31D
	v_mov_b32_e32 v30, v192                                    // 00000000AA44: 7E3C03C0
	v_mov_b32_e32 v31, v193                                    // 00000000AA48: 7E3E03C1
	v_cmp_u_f32_e64 s[74:75], v30, v30                         // 00000000AA4C: D048004A 00023D1E
	v_bfe_u32 v248, v30, 16, 1                                 // 00000000AA54: D1C800F8 0205211E
	v_add3_u32 v248, v30, v248, v251                           // 00000000AA5C: D1FF00F8 07EFF11E
	v_cndmask_b32_e64 v28, v248, v250, s[74:75]                // 00000000AA64: D100001C 012BF5F8
	v_lshrrev_b32_e32 v28, 16, v28                             // 00000000AA6C: 20383890
	v_cmp_u_f32_e64 s[74:75], v31, v31                         // 00000000AA70: D048004A 00023F1F
	v_bfe_u32 v248, v31, 16, 1                                 // 00000000AA78: D1C800F8 0205211F
	v_add3_u32 v248, v31, v248, v251                           // 00000000AA80: D1FF00F8 07EFF11F
	v_cndmask_b32_e64 v29, v248, v250, s[74:75]                // 00000000AA88: D100001D 012BF5F8
	v_and_or_b32 v172, v29, v249, v28                          // 00000000AA90: D20100AC 0473F31D
	v_mov_b32_e32 v30, v194                                    // 00000000AA98: 7E3C03C2
	v_mov_b32_e32 v31, v195                                    // 00000000AA9C: 7E3E03C3
	v_cmp_u_f32_e64 s[74:75], v30, v30                         // 00000000AAA0: D048004A 00023D1E
	v_bfe_u32 v248, v30, 16, 1                                 // 00000000AAA8: D1C800F8 0205211E
	v_add3_u32 v248, v30, v248, v251                           // 00000000AAB0: D1FF00F8 07EFF11E
	v_cndmask_b32_e64 v28, v248, v250, s[74:75]                // 00000000AAB8: D100001C 012BF5F8
	v_lshrrev_b32_e32 v28, 16, v28                             // 00000000AAC0: 20383890
	v_cmp_u_f32_e64 s[74:75], v31, v31                         // 00000000AAC4: D048004A 00023F1F
	v_bfe_u32 v248, v31, 16, 1                                 // 00000000AACC: D1C800F8 0205211F
	v_add3_u32 v248, v31, v248, v251                           // 00000000AAD4: D1FF00F8 07EFF11F
	v_cndmask_b32_e64 v29, v248, v250, s[74:75]                // 00000000AADC: D100001D 012BF5F8
	v_and_or_b32 v173, v29, v249, v28                          // 00000000AAE4: D20100AD 0473F31D
	v_mov_b32_e32 v30, v196                                    // 00000000AAEC: 7E3C03C4
	v_mov_b32_e32 v31, v197                                    // 00000000AAF0: 7E3E03C5
	v_cmp_u_f32_e64 s[74:75], v30, v30                         // 00000000AAF4: D048004A 00023D1E
	v_bfe_u32 v248, v30, 16, 1                                 // 00000000AAFC: D1C800F8 0205211E
	v_add3_u32 v248, v30, v248, v251                           // 00000000AB04: D1FF00F8 07EFF11E
	v_cndmask_b32_e64 v28, v248, v250, s[74:75]                // 00000000AB0C: D100001C 012BF5F8
	v_lshrrev_b32_e32 v28, 16, v28                             // 00000000AB14: 20383890
	v_cmp_u_f32_e64 s[74:75], v31, v31                         // 00000000AB18: D048004A 00023F1F
	v_bfe_u32 v248, v31, 16, 1                                 // 00000000AB20: D1C800F8 0205211F
	v_add3_u32 v248, v31, v248, v251                           // 00000000AB28: D1FF00F8 07EFF11F
	v_cndmask_b32_e64 v29, v248, v250, s[74:75]                // 00000000AB30: D100001D 012BF5F8
	v_and_or_b32 v174, v29, v249, v28                          // 00000000AB38: D20100AE 0473F31D
	v_mov_b32_e32 v30, v198                                    // 00000000AB40: 7E3C03C6
	v_mov_b32_e32 v31, v199                                    // 00000000AB44: 7E3E03C7
	v_cmp_u_f32_e64 s[74:75], v30, v30                         // 00000000AB48: D048004A 00023D1E
	v_bfe_u32 v248, v30, 16, 1                                 // 00000000AB50: D1C800F8 0205211E
	v_add3_u32 v248, v30, v248, v251                           // 00000000AB58: D1FF00F8 07EFF11E
	v_cndmask_b32_e64 v28, v248, v250, s[74:75]                // 00000000AB60: D100001C 012BF5F8
	v_lshrrev_b32_e32 v28, 16, v28                             // 00000000AB68: 20383890
	v_cmp_u_f32_e64 s[74:75], v31, v31                         // 00000000AB6C: D048004A 00023F1F
	v_bfe_u32 v248, v31, 16, 1                                 // 00000000AB74: D1C800F8 0205211F
	v_add3_u32 v248, v31, v248, v251                           // 00000000AB7C: D1FF00F8 07EFF11F
	v_cndmask_b32_e64 v29, v248, v250, s[74:75]                // 00000000AB84: D100001D 012BF5F8
	v_and_or_b32 v175, v29, v249, v28                          // 00000000AB8C: D20100AF 0473F31D
	v_mov_b32_e32 v30, v200                                    // 00000000AB94: 7E3C03C8
	v_mov_b32_e32 v31, v201                                    // 00000000AB98: 7E3E03C9
	v_cmp_u_f32_e64 s[74:75], v30, v30                         // 00000000AB9C: D048004A 00023D1E
	v_bfe_u32 v248, v30, 16, 1                                 // 00000000ABA4: D1C800F8 0205211E
	v_add3_u32 v248, v30, v248, v251                           // 00000000ABAC: D1FF00F8 07EFF11E
	v_cndmask_b32_e64 v28, v248, v250, s[74:75]                // 00000000ABB4: D100001C 012BF5F8
	v_lshrrev_b32_e32 v28, 16, v28                             // 00000000ABBC: 20383890
	v_cmp_u_f32_e64 s[74:75], v31, v31                         // 00000000ABC0: D048004A 00023F1F
	v_bfe_u32 v248, v31, 16, 1                                 // 00000000ABC8: D1C800F8 0205211F
	v_add3_u32 v248, v31, v248, v251                           // 00000000ABD0: D1FF00F8 07EFF11F
	v_cndmask_b32_e64 v29, v248, v250, s[74:75]                // 00000000ABD8: D100001D 012BF5F8
	v_and_or_b32 v176, v29, v249, v28                          // 00000000ABE0: D20100B0 0473F31D
	v_mov_b32_e32 v30, v202                                    // 00000000ABE8: 7E3C03CA
	v_mov_b32_e32 v31, v203                                    // 00000000ABEC: 7E3E03CB
	v_cmp_u_f32_e64 s[74:75], v30, v30                         // 00000000ABF0: D048004A 00023D1E
	v_bfe_u32 v248, v30, 16, 1                                 // 00000000ABF8: D1C800F8 0205211E
	v_add3_u32 v248, v30, v248, v251                           // 00000000AC00: D1FF00F8 07EFF11E
	v_cndmask_b32_e64 v28, v248, v250, s[74:75]                // 00000000AC08: D100001C 012BF5F8
	v_lshrrev_b32_e32 v28, 16, v28                             // 00000000AC10: 20383890
	v_cmp_u_f32_e64 s[74:75], v31, v31                         // 00000000AC14: D048004A 00023F1F
	v_bfe_u32 v248, v31, 16, 1                                 // 00000000AC1C: D1C800F8 0205211F
	v_add3_u32 v248, v31, v248, v251                           // 00000000AC24: D1FF00F8 07EFF11F
	v_cndmask_b32_e64 v29, v248, v250, s[74:75]                // 00000000AC2C: D100001D 012BF5F8
	v_and_or_b32 v177, v29, v249, v28                          // 00000000AC34: D20100B1 0473F31D
	v_mov_b32_e32 v30, v204                                    // 00000000AC3C: 7E3C03CC
	v_mov_b32_e32 v31, v205                                    // 00000000AC40: 7E3E03CD
	v_cmp_u_f32_e64 s[74:75], v30, v30                         // 00000000AC44: D048004A 00023D1E
	v_bfe_u32 v248, v30, 16, 1                                 // 00000000AC4C: D1C800F8 0205211E
	v_add3_u32 v248, v30, v248, v251                           // 00000000AC54: D1FF00F8 07EFF11E
	v_cndmask_b32_e64 v28, v248, v250, s[74:75]                // 00000000AC5C: D100001C 012BF5F8
	v_lshrrev_b32_e32 v28, 16, v28                             // 00000000AC64: 20383890
	v_cmp_u_f32_e64 s[74:75], v31, v31                         // 00000000AC68: D048004A 00023F1F
	v_bfe_u32 v248, v31, 16, 1                                 // 00000000AC70: D1C800F8 0205211F
	v_add3_u32 v248, v31, v248, v251                           // 00000000AC78: D1FF00F8 07EFF11F
	v_cndmask_b32_e64 v29, v248, v250, s[74:75]                // 00000000AC80: D100001D 012BF5F8
	v_and_or_b32 v178, v29, v249, v28                          // 00000000AC88: D20100B2 0473F31D
	v_mov_b32_e32 v30, v206                                    // 00000000AC90: 7E3C03CE
	v_mov_b32_e32 v31, v207                                    // 00000000AC94: 7E3E03CF
	v_cmp_u_f32_e64 s[74:75], v30, v30                         // 00000000AC98: D048004A 00023D1E
	v_bfe_u32 v248, v30, 16, 1                                 // 00000000ACA0: D1C800F8 0205211E
	v_add3_u32 v248, v30, v248, v251                           // 00000000ACA8: D1FF00F8 07EFF11E
	v_cndmask_b32_e64 v28, v248, v250, s[74:75]                // 00000000ACB0: D100001C 012BF5F8
	v_lshrrev_b32_e32 v28, 16, v28                             // 00000000ACB8: 20383890
	v_cmp_u_f32_e64 s[74:75], v31, v31                         // 00000000ACBC: D048004A 00023F1F
	v_bfe_u32 v248, v31, 16, 1                                 // 00000000ACC4: D1C800F8 0205211F
	v_add3_u32 v248, v31, v248, v251                           // 00000000ACCC: D1FF00F8 07EFF11F
	v_cndmask_b32_e64 v29, v248, v250, s[74:75]                // 00000000ACD4: D100001D 012BF5F8
	v_and_or_b32 v179, v29, v249, v28                          // 00000000ACDC: D20100B3 0473F31D
	v_mov_b32_e32 v30, v208                                    // 00000000ACE4: 7E3C03D0
	v_mov_b32_e32 v31, v209                                    // 00000000ACE8: 7E3E03D1
	v_cmp_u_f32_e64 s[74:75], v30, v30                         // 00000000ACEC: D048004A 00023D1E
	v_bfe_u32 v248, v30, 16, 1                                 // 00000000ACF4: D1C800F8 0205211E
	v_add3_u32 v248, v30, v248, v251                           // 00000000ACFC: D1FF00F8 07EFF11E
	v_cndmask_b32_e64 v28, v248, v250, s[74:75]                // 00000000AD04: D100001C 012BF5F8
	v_lshrrev_b32_e32 v28, 16, v28                             // 00000000AD0C: 20383890
	v_cmp_u_f32_e64 s[74:75], v31, v31                         // 00000000AD10: D048004A 00023F1F
	v_bfe_u32 v248, v31, 16, 1                                 // 00000000AD18: D1C800F8 0205211F
	v_add3_u32 v248, v31, v248, v251                           // 00000000AD20: D1FF00F8 07EFF11F
	v_cndmask_b32_e64 v29, v248, v250, s[74:75]                // 00000000AD28: D100001D 012BF5F8
	v_and_or_b32 v180, v29, v249, v28                          // 00000000AD30: D20100B4 0473F31D
	v_mov_b32_e32 v30, v210                                    // 00000000AD38: 7E3C03D2
	v_mov_b32_e32 v31, v211                                    // 00000000AD3C: 7E3E03D3
	v_cmp_u_f32_e64 s[74:75], v30, v30                         // 00000000AD40: D048004A 00023D1E
	v_bfe_u32 v248, v30, 16, 1                                 // 00000000AD48: D1C800F8 0205211E
	v_add3_u32 v248, v30, v248, v251                           // 00000000AD50: D1FF00F8 07EFF11E
	v_cndmask_b32_e64 v28, v248, v250, s[74:75]                // 00000000AD58: D100001C 012BF5F8
	v_lshrrev_b32_e32 v28, 16, v28                             // 00000000AD60: 20383890
	v_cmp_u_f32_e64 s[74:75], v31, v31                         // 00000000AD64: D048004A 00023F1F
	v_bfe_u32 v248, v31, 16, 1                                 // 00000000AD6C: D1C800F8 0205211F
	v_add3_u32 v248, v31, v248, v251                           // 00000000AD74: D1FF00F8 07EFF11F
	v_cndmask_b32_e64 v29, v248, v250, s[74:75]                // 00000000AD7C: D100001D 012BF5F8
	v_and_or_b32 v181, v29, v249, v28                          // 00000000AD84: D20100B5 0473F31D
	v_mov_b32_e32 v30, v212                                    // 00000000AD8C: 7E3C03D4
	v_mov_b32_e32 v31, v213                                    // 00000000AD90: 7E3E03D5
	v_cmp_u_f32_e64 s[74:75], v30, v30                         // 00000000AD94: D048004A 00023D1E
	v_bfe_u32 v248, v30, 16, 1                                 // 00000000AD9C: D1C800F8 0205211E
	v_add3_u32 v248, v30, v248, v251                           // 00000000ADA4: D1FF00F8 07EFF11E
	v_cndmask_b32_e64 v28, v248, v250, s[74:75]                // 00000000ADAC: D100001C 012BF5F8
	v_lshrrev_b32_e32 v28, 16, v28                             // 00000000ADB4: 20383890
	v_cmp_u_f32_e64 s[74:75], v31, v31                         // 00000000ADB8: D048004A 00023F1F
	v_bfe_u32 v248, v31, 16, 1                                 // 00000000ADC0: D1C800F8 0205211F
	v_add3_u32 v248, v31, v248, v251                           // 00000000ADC8: D1FF00F8 07EFF11F
	v_cndmask_b32_e64 v29, v248, v250, s[74:75]                // 00000000ADD0: D100001D 012BF5F8
	v_and_or_b32 v182, v29, v249, v28                          // 00000000ADD8: D20100B6 0473F31D
	v_mov_b32_e32 v30, v214                                    // 00000000ADE0: 7E3C03D6
	v_mov_b32_e32 v31, v215                                    // 00000000ADE4: 7E3E03D7
	v_cmp_u_f32_e64 s[74:75], v30, v30                         // 00000000ADE8: D048004A 00023D1E
	v_bfe_u32 v248, v30, 16, 1                                 // 00000000ADF0: D1C800F8 0205211E
	v_add3_u32 v248, v30, v248, v251                           // 00000000ADF8: D1FF00F8 07EFF11E
	v_cndmask_b32_e64 v28, v248, v250, s[74:75]                // 00000000AE00: D100001C 012BF5F8
	v_lshrrev_b32_e32 v28, 16, v28                             // 00000000AE08: 20383890
	v_cmp_u_f32_e64 s[74:75], v31, v31                         // 00000000AE0C: D048004A 00023F1F
	v_bfe_u32 v248, v31, 16, 1                                 // 00000000AE14: D1C800F8 0205211F
	v_add3_u32 v248, v31, v248, v251                           // 00000000AE1C: D1FF00F8 07EFF11F
	v_cndmask_b32_e64 v29, v248, v250, s[74:75]                // 00000000AE24: D100001D 012BF5F8
	v_and_or_b32 v183, v29, v249, v28                          // 00000000AE2C: D20100B7 0473F31D
	ds_write_b64 v27, v[168:169] offset:16896                  // 00000000AE34: D89A4200 0000A81B
	ds_write_b64 v27, v[170:171] offset:17424                  // 00000000AE3C: D89A4410 0000AA1B
	ds_write_b64 v27, v[172:173] offset:17952                  // 00000000AE44: D89A4620 0000AC1B
	ds_write_b64 v27, v[174:175] offset:18480                  // 00000000AE4C: D89A4830 0000AE1B
	ds_write_b64 v27, v[176:177] offset:19008                  // 00000000AE54: D89A4A40 0000B01B
	ds_write_b64 v27, v[178:179] offset:19536                  // 00000000AE5C: D89A4C50 0000B21B
	ds_write_b64 v27, v[180:181] offset:20064                  // 00000000AE64: D89A4E60 0000B41B
	ds_write_b64 v27, v[182:183] offset:20592                  // 00000000AE6C: D89A5070 0000B61B
	s_waitcnt lgkmcnt(0)                                       // 00000000AE74: BF8CC07F
	s_barrier                                                  // 00000000AE78: BF8A0000
	ds_read_b64 v[168:169], v26 offset:16896                   // 00000000AE7C: D8EC4200 A800001A
	ds_read_b64 v[170:171], v26 offset:17024                   // 00000000AE84: D8EC4280 AA00001A
	ds_read_b64 v[172:173], v26 offset:16928                   // 00000000AE8C: D8EC4220 AC00001A
	ds_read_b64 v[174:175], v26 offset:17056                   // 00000000AE94: D8EC42A0 AE00001A
	ds_read_b64 v[176:177], v26 offset:16960                   // 00000000AE9C: D8EC4240 B000001A
	ds_read_b64 v[178:179], v26 offset:17088                   // 00000000AEA4: D8EC42C0 B200001A
	ds_read_b64 v[180:181], v26 offset:16992                   // 00000000AEAC: D8EC4260 B400001A
	ds_read_b64 v[182:183], v26 offset:17120                   // 00000000AEB4: D8EC42E0 B600001A
	s_waitcnt lgkmcnt(0)                                       // 00000000AEBC: BF8CC07F
	buffer_store_dwordx4 v[168:171], v10, s[40:43], 0 idxen    // 00000000AEC0: E07C2000 800AA80A
	v_add_u32_e32 v10, s46, v10                                // 00000000AEC8: 6814142E
	buffer_store_dwordx4 v[172:175], v10, s[40:43], 0 idxen    // 00000000AECC: E07C2000 800AAC0A
	v_add_u32_e32 v10, s46, v10                                // 00000000AED4: 6814142E
	buffer_store_dwordx4 v[176:179], v10, s[40:43], 0 idxen    // 00000000AED8: E07C2000 800AB00A
	v_add_u32_e32 v10, s46, v10                                // 00000000AEE0: 6814142E
	buffer_store_dwordx4 v[180:183], v10, s[40:43], 0 idxen    // 00000000AEE4: E07C2000 800AB40A
	v_add_u32_e32 v10, s46, v10                                // 00000000AEEC: 6814142E
	s_mul_i32 s60, 12, s46                                     // 00000000AEF0: 923C2E8C
	v_add_u32_e32 v10, s60, v10                                // 00000000AEF4: 6814143C
	s_cmp_ge_i32 2, s73                                        // 00000000AEF8: BF034982
	s_cbranch_scc1 label_1DC3                                  // 00000000AEFC: BF850183
	v_mov_b32_e32 v30, v216                                    // 00000000AF00: 7E3C03D8
	v_mov_b32_e32 v31, v217                                    // 00000000AF04: 7E3E03D9
	v_cmp_u_f32_e64 s[74:75], v30, v30                         // 00000000AF08: D048004A 00023D1E
	v_bfe_u32 v248, v30, 16, 1                                 // 00000000AF10: D1C800F8 0205211E
	v_add3_u32 v248, v30, v248, v251                           // 00000000AF18: D1FF00F8 07EFF11E
	v_cndmask_b32_e64 v28, v248, v250, s[74:75]                // 00000000AF20: D100001C 012BF5F8
	v_lshrrev_b32_e32 v28, 16, v28                             // 00000000AF28: 20383890
	v_cmp_u_f32_e64 s[74:75], v31, v31                         // 00000000AF2C: D048004A 00023F1F
	v_bfe_u32 v248, v31, 16, 1                                 // 00000000AF34: D1C800F8 0205211F
	v_add3_u32 v248, v31, v248, v251                           // 00000000AF3C: D1FF00F8 07EFF11F
	v_cndmask_b32_e64 v29, v248, v250, s[74:75]                // 00000000AF44: D100001D 012BF5F8
	v_and_or_b32 v184, v29, v249, v28                          // 00000000AF4C: D20100B8 0473F31D
	v_mov_b32_e32 v30, v218                                    // 00000000AF54: 7E3C03DA
	v_mov_b32_e32 v31, v219                                    // 00000000AF58: 7E3E03DB
	v_cmp_u_f32_e64 s[74:75], v30, v30                         // 00000000AF5C: D048004A 00023D1E
	v_bfe_u32 v248, v30, 16, 1                                 // 00000000AF64: D1C800F8 0205211E
	v_add3_u32 v248, v30, v248, v251                           // 00000000AF6C: D1FF00F8 07EFF11E
	v_cndmask_b32_e64 v28, v248, v250, s[74:75]                // 00000000AF74: D100001C 012BF5F8
	v_lshrrev_b32_e32 v28, 16, v28                             // 00000000AF7C: 20383890
	v_cmp_u_f32_e64 s[74:75], v31, v31                         // 00000000AF80: D048004A 00023F1F
	v_bfe_u32 v248, v31, 16, 1                                 // 00000000AF88: D1C800F8 0205211F
	v_add3_u32 v248, v31, v248, v251                           // 00000000AF90: D1FF00F8 07EFF11F
	v_cndmask_b32_e64 v29, v248, v250, s[74:75]                // 00000000AF98: D100001D 012BF5F8
	v_and_or_b32 v185, v29, v249, v28                          // 00000000AFA0: D20100B9 0473F31D
	v_mov_b32_e32 v30, v220                                    // 00000000AFA8: 7E3C03DC
	v_mov_b32_e32 v31, v221                                    // 00000000AFAC: 7E3E03DD
	v_cmp_u_f32_e64 s[74:75], v30, v30                         // 00000000AFB0: D048004A 00023D1E
	v_bfe_u32 v248, v30, 16, 1                                 // 00000000AFB8: D1C800F8 0205211E
	v_add3_u32 v248, v30, v248, v251                           // 00000000AFC0: D1FF00F8 07EFF11E
	v_cndmask_b32_e64 v28, v248, v250, s[74:75]                // 00000000AFC8: D100001C 012BF5F8
	v_lshrrev_b32_e32 v28, 16, v28                             // 00000000AFD0: 20383890
	v_cmp_u_f32_e64 s[74:75], v31, v31                         // 00000000AFD4: D048004A 00023F1F
	v_bfe_u32 v248, v31, 16, 1                                 // 00000000AFDC: D1C800F8 0205211F
	v_add3_u32 v248, v31, v248, v251                           // 00000000AFE4: D1FF00F8 07EFF11F
	v_cndmask_b32_e64 v29, v248, v250, s[74:75]                // 00000000AFEC: D100001D 012BF5F8
	v_and_or_b32 v186, v29, v249, v28                          // 00000000AFF4: D20100BA 0473F31D
	v_mov_b32_e32 v30, v222                                    // 00000000AFFC: 7E3C03DE
	v_mov_b32_e32 v31, v223                                    // 00000000B000: 7E3E03DF
	v_cmp_u_f32_e64 s[74:75], v30, v30                         // 00000000B004: D048004A 00023D1E
	v_bfe_u32 v248, v30, 16, 1                                 // 00000000B00C: D1C800F8 0205211E
	v_add3_u32 v248, v30, v248, v251                           // 00000000B014: D1FF00F8 07EFF11E
	v_cndmask_b32_e64 v28, v248, v250, s[74:75]                // 00000000B01C: D100001C 012BF5F8
	v_lshrrev_b32_e32 v28, 16, v28                             // 00000000B024: 20383890
	v_cmp_u_f32_e64 s[74:75], v31, v31                         // 00000000B028: D048004A 00023F1F
	v_bfe_u32 v248, v31, 16, 1                                 // 00000000B030: D1C800F8 0205211F
	v_add3_u32 v248, v31, v248, v251                           // 00000000B038: D1FF00F8 07EFF11F
	v_cndmask_b32_e64 v29, v248, v250, s[74:75]                // 00000000B040: D100001D 012BF5F8
	v_and_or_b32 v187, v29, v249, v28                          // 00000000B048: D20100BB 0473F31D
	v_mov_b32_e32 v30, v224                                    // 00000000B050: 7E3C03E0
	v_mov_b32_e32 v31, v225                                    // 00000000B054: 7E3E03E1
	v_cmp_u_f32_e64 s[74:75], v30, v30                         // 00000000B058: D048004A 00023D1E
	v_bfe_u32 v248, v30, 16, 1                                 // 00000000B060: D1C800F8 0205211E
	v_add3_u32 v248, v30, v248, v251                           // 00000000B068: D1FF00F8 07EFF11E
	v_cndmask_b32_e64 v28, v248, v250, s[74:75]                // 00000000B070: D100001C 012BF5F8
	v_lshrrev_b32_e32 v28, 16, v28                             // 00000000B078: 20383890
	v_cmp_u_f32_e64 s[74:75], v31, v31                         // 00000000B07C: D048004A 00023F1F
	v_bfe_u32 v248, v31, 16, 1                                 // 00000000B084: D1C800F8 0205211F
	v_add3_u32 v248, v31, v248, v251                           // 00000000B08C: D1FF00F8 07EFF11F
	v_cndmask_b32_e64 v29, v248, v250, s[74:75]                // 00000000B094: D100001D 012BF5F8
	v_and_or_b32 v188, v29, v249, v28                          // 00000000B09C: D20100BC 0473F31D
	v_mov_b32_e32 v30, v226                                    // 00000000B0A4: 7E3C03E2
	v_mov_b32_e32 v31, v227                                    // 00000000B0A8: 7E3E03E3
	v_cmp_u_f32_e64 s[74:75], v30, v30                         // 00000000B0AC: D048004A 00023D1E
	v_bfe_u32 v248, v30, 16, 1                                 // 00000000B0B4: D1C800F8 0205211E
	v_add3_u32 v248, v30, v248, v251                           // 00000000B0BC: D1FF00F8 07EFF11E
	v_cndmask_b32_e64 v28, v248, v250, s[74:75]                // 00000000B0C4: D100001C 012BF5F8
	v_lshrrev_b32_e32 v28, 16, v28                             // 00000000B0CC: 20383890
	v_cmp_u_f32_e64 s[74:75], v31, v31                         // 00000000B0D0: D048004A 00023F1F
	v_bfe_u32 v248, v31, 16, 1                                 // 00000000B0D8: D1C800F8 0205211F
	v_add3_u32 v248, v31, v248, v251                           // 00000000B0E0: D1FF00F8 07EFF11F
	v_cndmask_b32_e64 v29, v248, v250, s[74:75]                // 00000000B0E8: D100001D 012BF5F8
	v_and_or_b32 v189, v29, v249, v28                          // 00000000B0F0: D20100BD 0473F31D
	v_mov_b32_e32 v30, v228                                    // 00000000B0F8: 7E3C03E4
	v_mov_b32_e32 v31, v229                                    // 00000000B0FC: 7E3E03E5
	v_cmp_u_f32_e64 s[74:75], v30, v30                         // 00000000B100: D048004A 00023D1E
	v_bfe_u32 v248, v30, 16, 1                                 // 00000000B108: D1C800F8 0205211E
	v_add3_u32 v248, v30, v248, v251                           // 00000000B110: D1FF00F8 07EFF11E
	v_cndmask_b32_e64 v28, v248, v250, s[74:75]                // 00000000B118: D100001C 012BF5F8
	v_lshrrev_b32_e32 v28, 16, v28                             // 00000000B120: 20383890
	v_cmp_u_f32_e64 s[74:75], v31, v31                         // 00000000B124: D048004A 00023F1F
	v_bfe_u32 v248, v31, 16, 1                                 // 00000000B12C: D1C800F8 0205211F
	v_add3_u32 v248, v31, v248, v251                           // 00000000B134: D1FF00F8 07EFF11F
	v_cndmask_b32_e64 v29, v248, v250, s[74:75]                // 00000000B13C: D100001D 012BF5F8
	v_and_or_b32 v190, v29, v249, v28                          // 00000000B144: D20100BE 0473F31D
	v_mov_b32_e32 v30, v230                                    // 00000000B14C: 7E3C03E6
	v_mov_b32_e32 v31, v231                                    // 00000000B150: 7E3E03E7
	v_cmp_u_f32_e64 s[74:75], v30, v30                         // 00000000B154: D048004A 00023D1E
	v_bfe_u32 v248, v30, 16, 1                                 // 00000000B15C: D1C800F8 0205211E
	v_add3_u32 v248, v30, v248, v251                           // 00000000B164: D1FF00F8 07EFF11E
	v_cndmask_b32_e64 v28, v248, v250, s[74:75]                // 00000000B16C: D100001C 012BF5F8
	v_lshrrev_b32_e32 v28, 16, v28                             // 00000000B174: 20383890
	v_cmp_u_f32_e64 s[74:75], v31, v31                         // 00000000B178: D048004A 00023F1F
	v_bfe_u32 v248, v31, 16, 1                                 // 00000000B180: D1C800F8 0205211F
	v_add3_u32 v248, v31, v248, v251                           // 00000000B188: D1FF00F8 07EFF11F
	v_cndmask_b32_e64 v29, v248, v250, s[74:75]                // 00000000B190: D100001D 012BF5F8
	v_and_or_b32 v191, v29, v249, v28                          // 00000000B198: D20100BF 0473F31D
	v_mov_b32_e32 v30, v232                                    // 00000000B1A0: 7E3C03E8
	v_mov_b32_e32 v31, v233                                    // 00000000B1A4: 7E3E03E9
	v_cmp_u_f32_e64 s[74:75], v30, v30                         // 00000000B1A8: D048004A 00023D1E
	v_bfe_u32 v248, v30, 16, 1                                 // 00000000B1B0: D1C800F8 0205211E
	v_add3_u32 v248, v30, v248, v251                           // 00000000B1B8: D1FF00F8 07EFF11E
	v_cndmask_b32_e64 v28, v248, v250, s[74:75]                // 00000000B1C0: D100001C 012BF5F8
	v_lshrrev_b32_e32 v28, 16, v28                             // 00000000B1C8: 20383890
	v_cmp_u_f32_e64 s[74:75], v31, v31                         // 00000000B1CC: D048004A 00023F1F
	v_bfe_u32 v248, v31, 16, 1                                 // 00000000B1D4: D1C800F8 0205211F
	v_add3_u32 v248, v31, v248, v251                           // 00000000B1DC: D1FF00F8 07EFF11F
	v_cndmask_b32_e64 v29, v248, v250, s[74:75]                // 00000000B1E4: D100001D 012BF5F8
	v_and_or_b32 v192, v29, v249, v28                          // 00000000B1EC: D20100C0 0473F31D
	v_mov_b32_e32 v30, v234                                    // 00000000B1F4: 7E3C03EA
	v_mov_b32_e32 v31, v235                                    // 00000000B1F8: 7E3E03EB
	v_cmp_u_f32_e64 s[74:75], v30, v30                         // 00000000B1FC: D048004A 00023D1E
	v_bfe_u32 v248, v30, 16, 1                                 // 00000000B204: D1C800F8 0205211E
	v_add3_u32 v248, v30, v248, v251                           // 00000000B20C: D1FF00F8 07EFF11E
	v_cndmask_b32_e64 v28, v248, v250, s[74:75]                // 00000000B214: D100001C 012BF5F8
	v_lshrrev_b32_e32 v28, 16, v28                             // 00000000B21C: 20383890
	v_cmp_u_f32_e64 s[74:75], v31, v31                         // 00000000B220: D048004A 00023F1F
	v_bfe_u32 v248, v31, 16, 1                                 // 00000000B228: D1C800F8 0205211F
	v_add3_u32 v248, v31, v248, v251                           // 00000000B230: D1FF00F8 07EFF11F
	v_cndmask_b32_e64 v29, v248, v250, s[74:75]                // 00000000B238: D100001D 012BF5F8
	v_and_or_b32 v193, v29, v249, v28                          // 00000000B240: D20100C1 0473F31D
	v_mov_b32_e32 v30, v236                                    // 00000000B248: 7E3C03EC
	v_mov_b32_e32 v31, v237                                    // 00000000B24C: 7E3E03ED
	v_cmp_u_f32_e64 s[74:75], v30, v30                         // 00000000B250: D048004A 00023D1E
	v_bfe_u32 v248, v30, 16, 1                                 // 00000000B258: D1C800F8 0205211E
	v_add3_u32 v248, v30, v248, v251                           // 00000000B260: D1FF00F8 07EFF11E
	v_cndmask_b32_e64 v28, v248, v250, s[74:75]                // 00000000B268: D100001C 012BF5F8
	v_lshrrev_b32_e32 v28, 16, v28                             // 00000000B270: 20383890
	v_cmp_u_f32_e64 s[74:75], v31, v31                         // 00000000B274: D048004A 00023F1F
	v_bfe_u32 v248, v31, 16, 1                                 // 00000000B27C: D1C800F8 0205211F
	v_add3_u32 v248, v31, v248, v251                           // 00000000B284: D1FF00F8 07EFF11F
	v_cndmask_b32_e64 v29, v248, v250, s[74:75]                // 00000000B28C: D100001D 012BF5F8
	v_and_or_b32 v194, v29, v249, v28                          // 00000000B294: D20100C2 0473F31D
	v_mov_b32_e32 v30, v238                                    // 00000000B29C: 7E3C03EE
	v_mov_b32_e32 v31, v239                                    // 00000000B2A0: 7E3E03EF
	v_cmp_u_f32_e64 s[74:75], v30, v30                         // 00000000B2A4: D048004A 00023D1E
	v_bfe_u32 v248, v30, 16, 1                                 // 00000000B2AC: D1C800F8 0205211E
	v_add3_u32 v248, v30, v248, v251                           // 00000000B2B4: D1FF00F8 07EFF11E
	v_cndmask_b32_e64 v28, v248, v250, s[74:75]                // 00000000B2BC: D100001C 012BF5F8
	v_lshrrev_b32_e32 v28, 16, v28                             // 00000000B2C4: 20383890
	v_cmp_u_f32_e64 s[74:75], v31, v31                         // 00000000B2C8: D048004A 00023F1F
	v_bfe_u32 v248, v31, 16, 1                                 // 00000000B2D0: D1C800F8 0205211F
	v_add3_u32 v248, v31, v248, v251                           // 00000000B2D8: D1FF00F8 07EFF11F
	v_cndmask_b32_e64 v29, v248, v250, s[74:75]                // 00000000B2E0: D100001D 012BF5F8
	v_and_or_b32 v195, v29, v249, v28                          // 00000000B2E8: D20100C3 0473F31D
	v_mov_b32_e32 v30, v240                                    // 00000000B2F0: 7E3C03F0
	v_mov_b32_e32 v31, v241                                    // 00000000B2F4: 7E3E03F1
	v_cmp_u_f32_e64 s[74:75], v30, v30                         // 00000000B2F8: D048004A 00023D1E
	v_bfe_u32 v248, v30, 16, 1                                 // 00000000B300: D1C800F8 0205211E
	v_add3_u32 v248, v30, v248, v251                           // 00000000B308: D1FF00F8 07EFF11E
	v_cndmask_b32_e64 v28, v248, v250, s[74:75]                // 00000000B310: D100001C 012BF5F8
	v_lshrrev_b32_e32 v28, 16, v28                             // 00000000B318: 20383890
	v_cmp_u_f32_e64 s[74:75], v31, v31                         // 00000000B31C: D048004A 00023F1F
	v_bfe_u32 v248, v31, 16, 1                                 // 00000000B324: D1C800F8 0205211F
	v_add3_u32 v248, v31, v248, v251                           // 00000000B32C: D1FF00F8 07EFF11F
	v_cndmask_b32_e64 v29, v248, v250, s[74:75]                // 00000000B334: D100001D 012BF5F8
	v_and_or_b32 v196, v29, v249, v28                          // 00000000B33C: D20100C4 0473F31D
	v_mov_b32_e32 v30, v242                                    // 00000000B344: 7E3C03F2
	v_mov_b32_e32 v31, v243                                    // 00000000B348: 7E3E03F3
	v_cmp_u_f32_e64 s[74:75], v30, v30                         // 00000000B34C: D048004A 00023D1E
	v_bfe_u32 v248, v30, 16, 1                                 // 00000000B354: D1C800F8 0205211E
	v_add3_u32 v248, v30, v248, v251                           // 00000000B35C: D1FF00F8 07EFF11E
	v_cndmask_b32_e64 v28, v248, v250, s[74:75]                // 00000000B364: D100001C 012BF5F8
	v_lshrrev_b32_e32 v28, 16, v28                             // 00000000B36C: 20383890
	v_cmp_u_f32_e64 s[74:75], v31, v31                         // 00000000B370: D048004A 00023F1F
	v_bfe_u32 v248, v31, 16, 1                                 // 00000000B378: D1C800F8 0205211F
	v_add3_u32 v248, v31, v248, v251                           // 00000000B380: D1FF00F8 07EFF11F
	v_cndmask_b32_e64 v29, v248, v250, s[74:75]                // 00000000B388: D100001D 012BF5F8
	v_and_or_b32 v197, v29, v249, v28                          // 00000000B390: D20100C5 0473F31D
	v_mov_b32_e32 v30, v244                                    // 00000000B398: 7E3C03F4
	v_mov_b32_e32 v31, v245                                    // 00000000B39C: 7E3E03F5
	v_cmp_u_f32_e64 s[74:75], v30, v30                         // 00000000B3A0: D048004A 00023D1E
	v_bfe_u32 v248, v30, 16, 1                                 // 00000000B3A8: D1C800F8 0205211E
	v_add3_u32 v248, v30, v248, v251                           // 00000000B3B0: D1FF00F8 07EFF11E
	v_cndmask_b32_e64 v28, v248, v250, s[74:75]                // 00000000B3B8: D100001C 012BF5F8
	v_lshrrev_b32_e32 v28, 16, v28                             // 00000000B3C0: 20383890
	v_cmp_u_f32_e64 s[74:75], v31, v31                         // 00000000B3C4: D048004A 00023F1F
	v_bfe_u32 v248, v31, 16, 1                                 // 00000000B3CC: D1C800F8 0205211F
	v_add3_u32 v248, v31, v248, v251                           // 00000000B3D4: D1FF00F8 07EFF11F
	v_cndmask_b32_e64 v29, v248, v250, s[74:75]                // 00000000B3DC: D100001D 012BF5F8
	v_and_or_b32 v198, v29, v249, v28                          // 00000000B3E4: D20100C6 0473F31D
	v_mov_b32_e32 v30, v246                                    // 00000000B3EC: 7E3C03F6
	v_mov_b32_e32 v31, v247                                    // 00000000B3F0: 7E3E03F7
	v_cmp_u_f32_e64 s[74:75], v30, v30                         // 00000000B3F4: D048004A 00023D1E
	v_bfe_u32 v248, v30, 16, 1                                 // 00000000B3FC: D1C800F8 0205211E
	v_add3_u32 v248, v30, v248, v251                           // 00000000B404: D1FF00F8 07EFF11E
	v_cndmask_b32_e64 v28, v248, v250, s[74:75]                // 00000000B40C: D100001C 012BF5F8
	v_lshrrev_b32_e32 v28, 16, v28                             // 00000000B414: 20383890
	v_cmp_u_f32_e64 s[74:75], v31, v31                         // 00000000B418: D048004A 00023F1F
	v_bfe_u32 v248, v31, 16, 1                                 // 00000000B420: D1C800F8 0205211F
	v_add3_u32 v248, v31, v248, v251                           // 00000000B428: D1FF00F8 07EFF11F
	v_cndmask_b32_e64 v29, v248, v250, s[74:75]                // 00000000B430: D100001D 012BF5F8
	v_and_or_b32 v199, v29, v249, v28                          // 00000000B438: D20100C7 0473F31D
	ds_write_b64 v27, v[184:185] offset:33792                  // 00000000B440: D89A8400 0000B81B
	ds_write_b64 v27, v[186:187] offset:34320                  // 00000000B448: D89A8610 0000BA1B
	ds_write_b64 v27, v[188:189] offset:34848                  // 00000000B450: D89A8820 0000BC1B
	ds_write_b64 v27, v[190:191] offset:35376                  // 00000000B458: D89A8A30 0000BE1B
	ds_write_b64 v27, v[192:193] offset:35904                  // 00000000B460: D89A8C40 0000C01B
	ds_write_b64 v27, v[194:195] offset:36432                  // 00000000B468: D89A8E50 0000C21B
	ds_write_b64 v27, v[196:197] offset:36960                  // 00000000B470: D89A9060 0000C41B
	ds_write_b64 v27, v[198:199] offset:37488                  // 00000000B478: D89A9270 0000C61B
	s_waitcnt lgkmcnt(0)                                       // 00000000B480: BF8CC07F
	s_barrier                                                  // 00000000B484: BF8A0000
	ds_read_b64 v[184:185], v26 offset:33792                   // 00000000B488: D8EC8400 B800001A
	ds_read_b64 v[186:187], v26 offset:33920                   // 00000000B490: D8EC8480 BA00001A
	ds_read_b64 v[188:189], v26 offset:33824                   // 00000000B498: D8EC8420 BC00001A
	ds_read_b64 v[190:191], v26 offset:33952                   // 00000000B4A0: D8EC84A0 BE00001A
	ds_read_b64 v[192:193], v26 offset:33856                   // 00000000B4A8: D8EC8440 C000001A
	ds_read_b64 v[194:195], v26 offset:33984                   // 00000000B4B0: D8EC84C0 C200001A
	ds_read_b64 v[196:197], v26 offset:33888                   // 00000000B4B8: D8EC8460 C400001A
	ds_read_b64 v[198:199], v26 offset:34016                   // 00000000B4C0: D8EC84E0 C600001A
	s_waitcnt lgkmcnt(0)                                       // 00000000B4C8: BF8CC07F
	buffer_store_dwordx4 v[184:187], v10, s[40:43], 0 idxen    // 00000000B4CC: E07C2000 800AB80A
	v_add_u32_e32 v10, s46, v10                                // 00000000B4D4: 6814142E
	buffer_store_dwordx4 v[188:191], v10, s[40:43], 0 idxen    // 00000000B4D8: E07C2000 800ABC0A
	v_add_u32_e32 v10, s46, v10                                // 00000000B4E0: 6814142E
	buffer_store_dwordx4 v[192:195], v10, s[40:43], 0 idxen    // 00000000B4E4: E07C2000 800AC00A
	v_add_u32_e32 v10, s46, v10                                // 00000000B4EC: 6814142E
	buffer_store_dwordx4 v[196:199], v10, s[40:43], 0 idxen    // 00000000B4F0: E07C2000 800AC40A
	v_add_u32_e32 v10, s46, v10                                // 00000000B4F8: 6814142E
	s_mul_i32 s60, 12, s46                                     // 00000000B4FC: 923C2E8C
	v_add_u32_e32 v10, s60, v10                                // 00000000B500: 6814143C
	s_cmp_ge_i32 3, s73                                        // 00000000B504: BF034983
	s_cbranch_scc1 label_1DC3                                  // 00000000B508: BF850000

000000000000b50c <label_1DC3>:
	s_waitcnt vmcnt(0) expcnt(0) lgkmcnt(0)                    // 00000000B50C: BF8C0000
	s_endpgm                                                   // 00000000B510: BF810000
